;; amdgpu-corpus repo=ROCm/rocFFT kind=compiled arch=gfx1201 opt=O3
	.text
	.amdgcn_target "amdgcn-amd-amdhsa--gfx1201"
	.amdhsa_code_object_version 6
	.protected	fft_rtc_fwd_len1734_factors_17_17_6_wgs_102_tpt_102_halfLds_sp_op_CI_CI_sbrr_dirReg ; -- Begin function fft_rtc_fwd_len1734_factors_17_17_6_wgs_102_tpt_102_halfLds_sp_op_CI_CI_sbrr_dirReg
	.globl	fft_rtc_fwd_len1734_factors_17_17_6_wgs_102_tpt_102_halfLds_sp_op_CI_CI_sbrr_dirReg
	.p2align	8
	.type	fft_rtc_fwd_len1734_factors_17_17_6_wgs_102_tpt_102_halfLds_sp_op_CI_CI_sbrr_dirReg,@function
fft_rtc_fwd_len1734_factors_17_17_6_wgs_102_tpt_102_halfLds_sp_op_CI_CI_sbrr_dirReg: ; @fft_rtc_fwd_len1734_factors_17_17_6_wgs_102_tpt_102_halfLds_sp_op_CI_CI_sbrr_dirReg
; %bb.0:
	s_clause 0x2
	s_load_b128 s[12:15], s[0:1], 0x18
	s_load_b128 s[4:7], s[0:1], 0x0
	;; [unrolled: 1-line block ×3, first 2 shown]
	v_mul_u32_u24_e32 v1, 0x283, v0
	v_mov_b32_e32 v5, 0
	v_mov_b32_e32 v33, 0
	;; [unrolled: 1-line block ×3, first 2 shown]
	s_wait_kmcnt 0x0
	s_load_b64 s[18:19], s[12:13], 0x0
	s_load_b64 s[16:17], s[14:15], 0x0
	v_lshrrev_b32_e32 v1, 16, v1
	v_cmp_lt_u64_e64 s2, s[6:7], 2
	s_delay_alu instid0(VALU_DEP_2) | instskip(NEXT) | instid1(VALU_DEP_2)
	v_dual_mov_b32 v8, v5 :: v_dual_add_nc_u32 v7, ttmp9, v1
	s_and_b32 vcc_lo, exec_lo, s2
	s_cbranch_vccnz .LBB0_8
; %bb.1:
	s_load_b64 s[2:3], s[0:1], 0x10
	v_mov_b32_e32 v33, 0
	v_mov_b32_e32 v34, 0
	s_delay_alu instid0(VALU_DEP_2)
	v_mov_b32_e32 v1, v33
	s_add_nc_u64 s[20:21], s[14:15], 8
	s_add_nc_u64 s[22:23], s[12:13], 8
	s_mov_b64 s[24:25], 1
	v_mov_b32_e32 v2, v34
	s_wait_kmcnt 0x0
	s_add_nc_u64 s[26:27], s[2:3], 8
	s_mov_b32 s3, 0
.LBB0_2:                                ; =>This Inner Loop Header: Depth=1
	s_load_b64 s[28:29], s[26:27], 0x0
                                        ; implicit-def: $vgpr3_vgpr4
	s_mov_b32 s2, exec_lo
	s_wait_kmcnt 0x0
	v_or_b32_e32 v6, s29, v8
	s_delay_alu instid0(VALU_DEP_1)
	v_cmpx_ne_u64_e32 0, v[5:6]
	s_wait_alu 0xfffe
	s_xor_b32 s30, exec_lo, s2
	s_cbranch_execz .LBB0_4
; %bb.3:                                ;   in Loop: Header=BB0_2 Depth=1
	s_cvt_f32_u32 s2, s28
	s_cvt_f32_u32 s31, s29
	s_sub_nc_u64 s[36:37], 0, s[28:29]
	s_wait_alu 0xfffe
	s_delay_alu instid0(SALU_CYCLE_1) | instskip(SKIP_1) | instid1(SALU_CYCLE_2)
	s_fmamk_f32 s2, s31, 0x4f800000, s2
	s_wait_alu 0xfffe
	v_s_rcp_f32 s2, s2
	s_delay_alu instid0(TRANS32_DEP_1) | instskip(SKIP_1) | instid1(SALU_CYCLE_2)
	s_mul_f32 s2, s2, 0x5f7ffffc
	s_wait_alu 0xfffe
	s_mul_f32 s31, s2, 0x2f800000
	s_wait_alu 0xfffe
	s_delay_alu instid0(SALU_CYCLE_2) | instskip(SKIP_1) | instid1(SALU_CYCLE_2)
	s_trunc_f32 s31, s31
	s_wait_alu 0xfffe
	s_fmamk_f32 s2, s31, 0xcf800000, s2
	s_cvt_u32_f32 s35, s31
	s_wait_alu 0xfffe
	s_delay_alu instid0(SALU_CYCLE_1) | instskip(SKIP_1) | instid1(SALU_CYCLE_2)
	s_cvt_u32_f32 s34, s2
	s_wait_alu 0xfffe
	s_mul_u64 s[38:39], s[36:37], s[34:35]
	s_wait_alu 0xfffe
	s_mul_hi_u32 s41, s34, s39
	s_mul_i32 s40, s34, s39
	s_mul_hi_u32 s2, s34, s38
	s_mul_i32 s33, s35, s38
	s_wait_alu 0xfffe
	s_add_nc_u64 s[40:41], s[2:3], s[40:41]
	s_mul_hi_u32 s31, s35, s38
	s_mul_hi_u32 s42, s35, s39
	s_add_co_u32 s2, s40, s33
	s_wait_alu 0xfffe
	s_add_co_ci_u32 s2, s41, s31
	s_mul_i32 s38, s35, s39
	s_add_co_ci_u32 s39, s42, 0
	s_wait_alu 0xfffe
	s_add_nc_u64 s[38:39], s[2:3], s[38:39]
	s_wait_alu 0xfffe
	v_add_co_u32 v3, s2, s34, s38
	s_delay_alu instid0(VALU_DEP_1) | instskip(SKIP_1) | instid1(VALU_DEP_1)
	s_cmp_lg_u32 s2, 0
	s_add_co_ci_u32 s35, s35, s39
	v_readfirstlane_b32 s34, v3
	s_wait_alu 0xfffe
	s_delay_alu instid0(VALU_DEP_1)
	s_mul_u64 s[36:37], s[36:37], s[34:35]
	s_wait_alu 0xfffe
	s_mul_hi_u32 s39, s34, s37
	s_mul_i32 s38, s34, s37
	s_mul_hi_u32 s2, s34, s36
	s_mul_i32 s33, s35, s36
	s_wait_alu 0xfffe
	s_add_nc_u64 s[38:39], s[2:3], s[38:39]
	s_mul_hi_u32 s31, s35, s36
	s_mul_hi_u32 s34, s35, s37
	s_wait_alu 0xfffe
	s_add_co_u32 s2, s38, s33
	s_add_co_ci_u32 s2, s39, s31
	s_mul_i32 s36, s35, s37
	s_add_co_ci_u32 s37, s34, 0
	s_wait_alu 0xfffe
	s_add_nc_u64 s[36:37], s[2:3], s[36:37]
	s_wait_alu 0xfffe
	v_add_co_u32 v6, s2, v3, s36
	s_delay_alu instid0(VALU_DEP_1) | instskip(SKIP_1) | instid1(VALU_DEP_1)
	s_cmp_lg_u32 s2, 0
	s_add_co_ci_u32 s2, s35, s37
	v_mul_hi_u32 v13, v7, v6
	s_wait_alu 0xfffe
	v_mad_co_u64_u32 v[3:4], null, v7, s2, 0
	v_mad_co_u64_u32 v[9:10], null, v8, v6, 0
	;; [unrolled: 1-line block ×3, first 2 shown]
	s_delay_alu instid0(VALU_DEP_3) | instskip(SKIP_1) | instid1(VALU_DEP_4)
	v_add_co_u32 v3, vcc_lo, v13, v3
	s_wait_alu 0xfffd
	v_add_co_ci_u32_e32 v4, vcc_lo, 0, v4, vcc_lo
	s_delay_alu instid0(VALU_DEP_2) | instskip(SKIP_1) | instid1(VALU_DEP_2)
	v_add_co_u32 v3, vcc_lo, v3, v9
	s_wait_alu 0xfffd
	v_add_co_ci_u32_e32 v3, vcc_lo, v4, v10, vcc_lo
	s_wait_alu 0xfffd
	v_add_co_ci_u32_e32 v4, vcc_lo, 0, v12, vcc_lo
	s_delay_alu instid0(VALU_DEP_2) | instskip(SKIP_1) | instid1(VALU_DEP_2)
	v_add_co_u32 v6, vcc_lo, v3, v11
	s_wait_alu 0xfffd
	v_add_co_ci_u32_e32 v9, vcc_lo, 0, v4, vcc_lo
	s_delay_alu instid0(VALU_DEP_2) | instskip(SKIP_1) | instid1(VALU_DEP_3)
	v_mul_lo_u32 v10, s29, v6
	v_mad_co_u64_u32 v[3:4], null, s28, v6, 0
	v_mul_lo_u32 v11, s28, v9
	s_delay_alu instid0(VALU_DEP_2) | instskip(NEXT) | instid1(VALU_DEP_2)
	v_sub_co_u32 v3, vcc_lo, v7, v3
	v_add3_u32 v4, v4, v11, v10
	s_delay_alu instid0(VALU_DEP_1) | instskip(SKIP_1) | instid1(VALU_DEP_1)
	v_sub_nc_u32_e32 v10, v8, v4
	s_wait_alu 0xfffd
	v_subrev_co_ci_u32_e64 v10, s2, s29, v10, vcc_lo
	v_add_co_u32 v11, s2, v6, 2
	s_wait_alu 0xf1ff
	v_add_co_ci_u32_e64 v12, s2, 0, v9, s2
	v_sub_co_u32 v13, s2, v3, s28
	v_sub_co_ci_u32_e32 v4, vcc_lo, v8, v4, vcc_lo
	s_wait_alu 0xf1ff
	v_subrev_co_ci_u32_e64 v10, s2, 0, v10, s2
	s_delay_alu instid0(VALU_DEP_3) | instskip(NEXT) | instid1(VALU_DEP_3)
	v_cmp_le_u32_e32 vcc_lo, s28, v13
	v_cmp_eq_u32_e64 s2, s29, v4
	s_wait_alu 0xfffd
	v_cndmask_b32_e64 v13, 0, -1, vcc_lo
	v_cmp_le_u32_e32 vcc_lo, s29, v10
	s_wait_alu 0xfffd
	v_cndmask_b32_e64 v14, 0, -1, vcc_lo
	v_cmp_le_u32_e32 vcc_lo, s28, v3
	;; [unrolled: 3-line block ×3, first 2 shown]
	s_wait_alu 0xfffd
	v_cndmask_b32_e64 v15, 0, -1, vcc_lo
	v_cmp_eq_u32_e32 vcc_lo, s29, v10
	s_wait_alu 0xf1ff
	s_delay_alu instid0(VALU_DEP_2)
	v_cndmask_b32_e64 v3, v15, v3, s2
	s_wait_alu 0xfffd
	v_cndmask_b32_e32 v10, v14, v13, vcc_lo
	v_add_co_u32 v13, vcc_lo, v6, 1
	s_wait_alu 0xfffd
	v_add_co_ci_u32_e32 v14, vcc_lo, 0, v9, vcc_lo
	s_delay_alu instid0(VALU_DEP_3) | instskip(SKIP_1) | instid1(VALU_DEP_2)
	v_cmp_ne_u32_e32 vcc_lo, 0, v10
	s_wait_alu 0xfffd
	v_cndmask_b32_e32 v4, v14, v12, vcc_lo
	v_cndmask_b32_e32 v10, v13, v11, vcc_lo
	v_cmp_ne_u32_e32 vcc_lo, 0, v3
	s_wait_alu 0xfffd
	s_delay_alu instid0(VALU_DEP_2)
	v_dual_cndmask_b32 v4, v9, v4 :: v_dual_cndmask_b32 v3, v6, v10
.LBB0_4:                                ;   in Loop: Header=BB0_2 Depth=1
	s_wait_alu 0xfffe
	s_and_not1_saveexec_b32 s2, s30
	s_cbranch_execz .LBB0_6
; %bb.5:                                ;   in Loop: Header=BB0_2 Depth=1
	v_cvt_f32_u32_e32 v3, s28
	s_sub_co_i32 s30, 0, s28
	s_delay_alu instid0(VALU_DEP_1) | instskip(NEXT) | instid1(TRANS32_DEP_1)
	v_rcp_iflag_f32_e32 v3, v3
	v_mul_f32_e32 v3, 0x4f7ffffe, v3
	s_delay_alu instid0(VALU_DEP_1) | instskip(SKIP_1) | instid1(VALU_DEP_1)
	v_cvt_u32_f32_e32 v3, v3
	s_wait_alu 0xfffe
	v_mul_lo_u32 v4, s30, v3
	s_delay_alu instid0(VALU_DEP_1) | instskip(NEXT) | instid1(VALU_DEP_1)
	v_mul_hi_u32 v4, v3, v4
	v_add_nc_u32_e32 v3, v3, v4
	s_delay_alu instid0(VALU_DEP_1) | instskip(NEXT) | instid1(VALU_DEP_1)
	v_mul_hi_u32 v3, v7, v3
	v_mul_lo_u32 v4, v3, s28
	v_add_nc_u32_e32 v6, 1, v3
	s_delay_alu instid0(VALU_DEP_2) | instskip(NEXT) | instid1(VALU_DEP_1)
	v_sub_nc_u32_e32 v4, v7, v4
	v_subrev_nc_u32_e32 v9, s28, v4
	v_cmp_le_u32_e32 vcc_lo, s28, v4
	s_wait_alu 0xfffd
	s_delay_alu instid0(VALU_DEP_2) | instskip(NEXT) | instid1(VALU_DEP_1)
	v_dual_cndmask_b32 v4, v4, v9 :: v_dual_cndmask_b32 v3, v3, v6
	v_cmp_le_u32_e32 vcc_lo, s28, v4
	v_mov_b32_e32 v4, v5
	s_delay_alu instid0(VALU_DEP_3) | instskip(SKIP_1) | instid1(VALU_DEP_1)
	v_add_nc_u32_e32 v6, 1, v3
	s_wait_alu 0xfffd
	v_cndmask_b32_e32 v3, v3, v6, vcc_lo
.LBB0_6:                                ;   in Loop: Header=BB0_2 Depth=1
	s_wait_alu 0xfffe
	s_or_b32 exec_lo, exec_lo, s2
	v_mul_lo_u32 v6, v4, s28
	s_delay_alu instid0(VALU_DEP_2)
	v_mul_lo_u32 v11, v3, s29
	s_load_b64 s[30:31], s[22:23], 0x0
	v_mad_co_u64_u32 v[9:10], null, v3, s28, 0
	s_load_b64 s[28:29], s[20:21], 0x0
	s_add_nc_u64 s[24:25], s[24:25], 1
	s_add_nc_u64 s[20:21], s[20:21], 8
	s_wait_alu 0xfffe
	v_cmp_ge_u64_e64 s2, s[24:25], s[6:7]
	s_add_nc_u64 s[22:23], s[22:23], 8
	s_add_nc_u64 s[26:27], s[26:27], 8
	v_add3_u32 v6, v10, v11, v6
	v_sub_co_u32 v7, vcc_lo, v7, v9
	s_wait_alu 0xfffd
	s_delay_alu instid0(VALU_DEP_2) | instskip(SKIP_2) | instid1(VALU_DEP_1)
	v_sub_co_ci_u32_e32 v6, vcc_lo, v8, v6, vcc_lo
	s_and_b32 vcc_lo, exec_lo, s2
	s_wait_kmcnt 0x0
	v_mul_lo_u32 v8, s30, v6
	v_mul_lo_u32 v9, s31, v7
	v_mad_co_u64_u32 v[33:34], null, s30, v7, v[33:34]
	v_mul_lo_u32 v6, s28, v6
	v_mul_lo_u32 v10, s29, v7
	v_mad_co_u64_u32 v[1:2], null, s28, v7, v[1:2]
	s_delay_alu instid0(VALU_DEP_4) | instskip(NEXT) | instid1(VALU_DEP_2)
	v_add3_u32 v34, v9, v34, v8
	v_add3_u32 v2, v10, v2, v6
	s_wait_alu 0xfffe
	s_cbranch_vccnz .LBB0_9
; %bb.7:                                ;   in Loop: Header=BB0_2 Depth=1
	v_dual_mov_b32 v8, v4 :: v_dual_mov_b32 v7, v3
	s_branch .LBB0_2
.LBB0_8:
	v_dual_mov_b32 v1, v33 :: v_dual_mov_b32 v2, v34
	s_delay_alu instid0(VALU_DEP_2)
	v_dual_mov_b32 v3, v7 :: v_dual_mov_b32 v4, v8
.LBB0_9:
	s_load_b64 s[0:1], s[0:1], 0x28
	v_mul_hi_u32 v5, 0x2828283, v0
	s_lshl_b64 s[6:7], s[6:7], 3
                                        ; implicit-def: $sgpr2_sgpr3
                                        ; implicit-def: $vgpr40
                                        ; implicit-def: $vgpr42
                                        ; implicit-def: $vgpr41
	s_wait_kmcnt 0x0
	v_cmp_gt_u64_e32 vcc_lo, s[0:1], v[3:4]
	v_cmp_le_u64_e64 s0, s[0:1], v[3:4]
	s_delay_alu instid0(VALU_DEP_1)
	s_and_saveexec_b32 s1, s0
	s_wait_alu 0xfffe
	s_xor_b32 s0, exec_lo, s1
; %bb.10:
	v_mul_u32_u24_e32 v5, 0x66, v5
	s_mov_b64 s[2:3], 0
                                        ; implicit-def: $vgpr33_vgpr34
	s_delay_alu instid0(VALU_DEP_1) | instskip(NEXT) | instid1(VALU_DEP_1)
	v_sub_nc_u32_e32 v40, v0, v5
                                        ; implicit-def: $vgpr5
                                        ; implicit-def: $vgpr0
	v_add_nc_u32_e32 v42, 0x66, v40
	v_add_nc_u32_e32 v41, 0xcc, v40
; %bb.11:
	s_wait_alu 0xfffe
	s_or_saveexec_b32 s1, s0
	v_dual_mov_b32 v28, s3 :: v_dual_mov_b32 v27, s2
	s_add_nc_u64 s[2:3], s[14:15], s[6:7]
                                        ; implicit-def: $vgpr35
                                        ; implicit-def: $vgpr30
                                        ; implicit-def: $vgpr24
                                        ; implicit-def: $vgpr22
                                        ; implicit-def: $vgpr18
                                        ; implicit-def: $vgpr14
                                        ; implicit-def: $vgpr10
                                        ; implicit-def: $vgpr6
                                        ; implicit-def: $vgpr39
                                        ; implicit-def: $vgpr37
                                        ; implicit-def: $vgpr32
                                        ; implicit-def: $vgpr26
                                        ; implicit-def: $vgpr20
                                        ; implicit-def: $vgpr16
                                        ; implicit-def: $vgpr12
                                        ; implicit-def: $vgpr8
	s_wait_alu 0xfffe
	s_xor_b32 exec_lo, exec_lo, s1
	s_cbranch_execz .LBB0_13
; %bb.12:
	s_add_nc_u64 s[6:7], s[12:13], s[6:7]
	v_mul_u32_u24_e32 v5, 0x66, v5
	s_load_b64 s[6:7], s[6:7], 0x0
	v_lshlrev_b64_e32 v[7:8], 3, v[33:34]
	s_delay_alu instid0(VALU_DEP_2) | instskip(NEXT) | instid1(VALU_DEP_1)
	v_sub_nc_u32_e32 v40, v0, v5
	v_mad_co_u64_u32 v[5:6], null, s18, v40, 0
	v_add_nc_u32_e32 v42, 0x66, v40
	v_add_nc_u32_e32 v41, 0xcc, v40
	;; [unrolled: 1-line block ×5, first 2 shown]
	v_mad_co_u64_u32 v[9:10], null, s18, v42, 0
	v_mov_b32_e32 v0, v6
	v_mad_co_u64_u32 v[11:12], null, s18, v41, 0
	s_wait_kmcnt 0x0
	v_mul_lo_u32 v20, s7, v3
	v_mul_lo_u32 v22, s6, v4
	v_mad_co_u64_u32 v[13:14], null, s6, v3, 0
	v_add_nc_u32_e32 v21, 0x132, v40
	v_mad_co_u64_u32 v[15:16], null, s19, v40, v[0:1]
	v_mov_b32_e32 v0, v10
	v_mov_b32_e32 v6, v12
	s_delay_alu instid0(VALU_DEP_4) | instskip(SKIP_1) | instid1(VALU_DEP_4)
	v_mad_co_u64_u32 v[16:17], null, s18, v21, 0
	v_add3_u32 v14, v14, v22, v20
	v_mad_co_u64_u32 v[18:19], null, s19, v42, v[0:1]
	s_delay_alu instid0(VALU_DEP_4) | instskip(NEXT) | instid1(VALU_DEP_3)
	v_mad_co_u64_u32 v[19:20], null, s19, v41, v[6:7]
	v_lshlrev_b64_e32 v[13:14], 3, v[13:14]
	v_dual_mov_b32 v0, v17 :: v_dual_add_nc_u32 v25, 0x2ca, v40
	v_add_nc_u32_e32 v20, 0x198, v40
	v_add_nc_u32_e32 v22, 0x1fe, v40
	v_mov_b32_e32 v6, v15
	v_add_co_u32 v13, s0, s8, v13
	v_mov_b32_e32 v12, v19
	s_wait_alu 0xf1ff
	v_add_co_ci_u32_e64 v14, s0, s9, v14, s0
	s_delay_alu instid0(VALU_DEP_3) | instskip(SKIP_2) | instid1(VALU_DEP_3)
	v_add_co_u32 v47, s0, v13, v7
	v_mov_b32_e32 v10, v18
	s_wait_alu 0xf1ff
	v_add_co_ci_u32_e64 v48, s0, v14, v8, s0
	v_lshlrev_b64_e32 v[7:8], 3, v[11:12]
	v_mad_co_u64_u32 v[11:12], null, s19, v21, v[0:1]
	v_mad_co_u64_u32 v[12:13], null, s18, v20, 0
	v_mad_co_u64_u32 v[14:15], null, s18, v22, 0
	v_lshlrev_b64_e32 v[9:10], 3, v[9:10]
	v_add_nc_u32_e32 v33, 0x4c8, v40
	v_mov_b32_e32 v17, v11
	v_dual_mov_b32 v0, v13 :: v_dual_add_nc_u32 v49, 0x660, v40
	v_add_nc_u32_e32 v31, 0x3fc, v40
	v_mov_b32_e32 v11, v15
	s_delay_alu instid0(VALU_DEP_4) | instskip(SKIP_2) | instid1(VALU_DEP_4)
	v_lshlrev_b64_e32 v[15:16], 3, v[16:17]
	v_add_nc_u32_e32 v43, 0x594, v40
	v_mad_co_u64_u32 v[17:18], null, s19, v20, v[0:1]
	v_mad_co_u64_u32 v[18:19], null, s19, v22, v[11:12]
	v_add_nc_u32_e32 v11, 0x264, v40
	v_lshlrev_b64_e32 v[5:6], 3, v[5:6]
	v_mad_co_u64_u32 v[21:22], null, s18, v25, 0
	v_mov_b32_e32 v13, v17
	v_mad_co_u64_u32 v[36:37], null, s18, v43, 0
	s_delay_alu instid0(VALU_DEP_4)
	v_add_co_u32 v5, s0, v47, v5
	s_wait_alu 0xf1ff
	v_add_co_ci_u32_e64 v6, s0, v48, v6, s0
	v_add_co_u32 v9, s0, v47, v9
	s_wait_alu 0xf1ff
	v_add_co_ci_u32_e64 v10, s0, v48, v10, s0
	;; [unrolled: 3-line block ×4, first 2 shown]
	v_mad_co_u64_u32 v[16:17], null, s18, v11, 0
	s_clause 0x3
	global_load_b64 v[27:28], v[5:6], off
	global_load_b64 v[34:35], v[9:10], off
	;; [unrolled: 1-line block ×4, first 2 shown]
	v_mov_b32_e32 v9, v22
	v_lshlrev_b64_e32 v[5:6], 3, v[12:13]
	v_add_nc_u32_e32 v13, 0x330, v40
	v_dual_mov_b32 v15, v18 :: v_dual_mov_b32 v0, v17
	s_delay_alu instid0(VALU_DEP_2) | instskip(NEXT) | instid1(VALU_DEP_2)
	v_mad_co_u64_u32 v[19:20], null, s18, v13, 0
	v_lshlrev_b64_e32 v[7:8], 3, v[14:15]
	s_delay_alu instid0(VALU_DEP_3)
	v_mad_co_u64_u32 v[10:11], null, s19, v11, v[0:1]
	v_add_co_u32 v5, s0, v47, v5
	s_wait_alu 0xf1ff
	v_add_co_ci_u32_e64 v6, s0, v48, v6, s0
	v_mov_b32_e32 v0, v20
	v_add_co_u32 v7, s0, v47, v7
	v_mov_b32_e32 v17, v10
	v_mad_co_u64_u32 v[11:12], null, s19, v25, v[9:10]
	v_mad_co_u64_u32 v[25:26], null, s18, v31, 0
	s_delay_alu instid0(VALU_DEP_3)
	v_lshlrev_b64_e32 v[9:10], 3, v[16:17]
	v_add_nc_u32_e32 v17, 0x396, v40
	s_wait_alu 0xf1ff
	v_add_co_ci_u32_e64 v8, s0, v48, v8, s0
	v_mov_b32_e32 v22, v11
	v_mad_co_u64_u32 v[13:14], null, s19, v13, v[0:1]
	v_mad_co_u64_u32 v[15:16], null, s18, v17, 0
	s_delay_alu instid0(VALU_DEP_3)
	v_lshlrev_b64_e32 v[11:12], 3, v[21:22]
	v_add_co_u32 v9, s0, v47, v9
	s_wait_alu 0xf1ff
	v_add_co_ci_u32_e64 v10, s0, v48, v10, s0
	v_mov_b32_e32 v20, v13
	v_mov_b32_e32 v0, v16
	v_add_co_u32 v11, s0, v47, v11
	s_wait_alu 0xf1ff
	v_add_co_ci_u32_e64 v12, s0, v48, v12, s0
	s_delay_alu instid0(VALU_DEP_3)
	v_mad_co_u64_u32 v[16:17], null, s19, v17, v[0:1]
	v_mov_b32_e32 v0, v26
	s_clause 0x3
	global_load_b64 v[21:22], v[5:6], off
	global_load_b64 v[17:18], v[7:8], off
	;; [unrolled: 1-line block ×4, first 2 shown]
	v_mad_co_u64_u32 v[7:8], null, s18, v32, 0
	v_lshlrev_b64_e32 v[5:6], 3, v[19:20]
	v_mad_co_u64_u32 v[11:12], null, s19, v31, v[0:1]
	v_mad_co_u64_u32 v[19:20], null, s18, v33, 0
	v_lshlrev_b64_e32 v[15:16], 3, v[15:16]
	v_mov_b32_e32 v0, v8
	v_add_co_u32 v5, s0, v47, v5
	v_mov_b32_e32 v26, v11
	s_wait_alu 0xf1ff
	v_add_co_ci_u32_e64 v6, s0, v48, v6, s0
	v_mad_co_u64_u32 v[11:12], null, s19, v32, v[0:1]
	s_delay_alu instid0(VALU_DEP_3)
	v_lshlrev_b64_e32 v[25:26], 3, v[25:26]
	v_add_co_u32 v15, s0, v47, v15
	v_mov_b32_e32 v0, v20
	v_mad_co_u64_u32 v[31:32], null, s18, v38, 0
	s_wait_alu 0xf1ff
	v_add_co_ci_u32_e64 v16, s0, v48, v16, s0
	v_mov_b32_e32 v8, v11
	v_add_co_u32 v11, s0, v47, v25
	s_wait_alu 0xf1ff
	v_add_co_ci_u32_e64 v12, s0, v48, v26, s0
	v_mad_co_u64_u32 v[25:26], null, s19, v33, v[0:1]
	v_mov_b32_e32 v0, v32
	v_lshlrev_b64_e32 v[7:8], 3, v[7:8]
	s_delay_alu instid0(VALU_DEP_3) | instskip(NEXT) | instid1(VALU_DEP_3)
	v_mov_b32_e32 v20, v25
	v_mad_co_u64_u32 v[25:26], null, s19, v38, v[0:1]
	v_mad_co_u64_u32 v[38:39], null, s18, v46, 0
	v_mov_b32_e32 v0, v37
	v_add_co_u32 v32, s0, v47, v7
	s_wait_alu 0xf1ff
	v_add_co_ci_u32_e64 v33, s0, v48, v8, s0
	s_delay_alu instid0(VALU_DEP_3)
	v_mad_co_u64_u32 v[43:44], null, s19, v43, v[0:1]
	v_mad_co_u64_u32 v[44:45], null, s18, v49, 0
	v_mov_b32_e32 v0, v39
	s_clause 0x3
	global_load_b64 v[5:6], v[5:6], off
	global_load_b64 v[7:8], v[15:16], off
	;; [unrolled: 1-line block ×4, first 2 shown]
	v_mov_b32_e32 v32, v25
	v_lshlrev_b64_e32 v[19:20], 3, v[19:20]
	v_mov_b32_e32 v37, v43
	v_mad_co_u64_u32 v[25:26], null, s19, v46, v[0:1]
	v_mov_b32_e32 v0, v45
	v_lshlrev_b64_e32 v[31:32], 3, v[31:32]
	v_add_co_u32 v19, s0, v47, v19
	s_wait_alu 0xf1ff
	v_add_co_ci_u32_e64 v20, s0, v48, v20, s0
	v_mov_b32_e32 v39, v25
	v_mad_co_u64_u32 v[45:46], null, s19, v49, v[0:1]
	v_lshlrev_b64_e32 v[36:37], 3, v[36:37]
	v_add_co_u32 v25, s0, v47, v31
	s_wait_alu 0xf1ff
	v_add_co_ci_u32_e64 v26, s0, v48, v32, s0
	v_lshlrev_b64_e32 v[31:32], 3, v[38:39]
	s_delay_alu instid0(VALU_DEP_4) | instskip(SKIP_3) | instid1(VALU_DEP_4)
	v_add_co_u32 v36, s0, v47, v36
	v_lshlrev_b64_e32 v[38:39], 3, v[44:45]
	s_wait_alu 0xf1ff
	v_add_co_ci_u32_e64 v37, s0, v48, v37, s0
	v_add_co_u32 v43, s0, v47, v31
	s_wait_alu 0xf1ff
	v_add_co_ci_u32_e64 v44, s0, v48, v32, s0
	v_add_co_u32 v38, s0, v47, v38
	s_wait_alu 0xf1ff
	v_add_co_ci_u32_e64 v39, s0, v48, v39, s0
	s_clause 0x4
	global_load_b64 v[19:20], v[19:20], off
	global_load_b64 v[25:26], v[25:26], off
	;; [unrolled: 1-line block ×5, first 2 shown]
.LBB0_13:
	s_or_b32 exec_lo, exec_lo, s1
	s_wait_loadcnt 0xf
	v_dual_add_f32 v0, v34, v27 :: v_dual_add_f32 v33, v35, v28
	s_wait_loadcnt 0x0
	v_add_f32_e32 v43, v34, v38
	v_sub_f32_e32 v34, v34, v38
	s_load_b64 s[2:3], s[2:3], 0x0
	v_dual_add_f32 v0, v29, v0 :: v_dual_add_f32 v33, v30, v33
	v_add_f32_e32 v44, v35, v39
	v_sub_f32_e32 v35, v35, v39
	v_cmp_gt_u32_e64 s0, 0x55, v40
	s_delay_alu instid0(VALU_DEP_4) | instskip(SKIP_3) | instid1(VALU_DEP_4)
	v_dual_add_f32 v0, v23, v0 :: v_dual_add_f32 v33, v24, v33
	v_mul_f32_e32 v45, 0x3f6eb680, v43
	v_mul_f32_e32 v46, 0xbeb8f4ab, v34
	v_mul_f32_e32 v68, 0xbf06c442, v34
	v_dual_add_f32 v0, v21, v0 :: v_dual_add_f32 v33, v22, v33
	v_mul_f32_e32 v47, 0x3f3d2fb0, v43
	v_mul_f32_e32 v48, 0xbf2c7751, v34
	s_delay_alu instid0(VALU_DEP_4) | instskip(NEXT) | instid1(VALU_DEP_4)
	v_dual_mul_f32 v67, 0xbf59a7d5, v43 :: v_dual_fmamk_f32 v70, v44, 0xbf59a7d5, v68
	v_dual_add_f32 v0, v17, v0 :: v_dual_mul_f32 v49, 0x3ee437d1, v43
	v_dual_add_f32 v33, v18, v33 :: v_dual_mul_f32 v50, 0xbf65296c, v34
	v_add_f32_e32 v72, v29, v36
	s_delay_alu instid0(VALU_DEP_3) | instskip(NEXT) | instid1(VALU_DEP_3)
	v_dual_add_f32 v0, v13, v0 :: v_dual_mul_f32 v51, 0x3dbcf732, v43
	v_dual_add_f32 v33, v14, v33 :: v_dual_mul_f32 v52, 0xbf7ee86f, v34
	v_dual_fmamk_f32 v69, v35, 0x3f06c442, v67 :: v_dual_add_f32 v70, v70, v28
	s_delay_alu instid0(VALU_DEP_3) | instskip(NEXT) | instid1(VALU_DEP_3)
	v_dual_add_f32 v0, v9, v0 :: v_dual_mul_f32 v53, 0xbe8c1d8e, v43
	v_dual_add_f32 v33, v10, v33 :: v_dual_fmamk_f32 v54, v35, 0x3eb8f4ab, v45
	v_dual_fmac_f32 v67, 0xbf06c442, v35 :: v_dual_sub_f32 v74, v30, v37
	s_delay_alu instid0(VALU_DEP_3) | instskip(NEXT) | instid1(VALU_DEP_3)
	v_dual_add_f32 v0, v5, v0 :: v_dual_fmamk_f32 v55, v44, 0x3f6eb680, v46
	v_dual_add_f32 v33, v6, v33 :: v_dual_fmamk_f32 v56, v35, 0x3f2c7751, v47
	s_delay_alu instid0(VALU_DEP_4) | instskip(NEXT) | instid1(VALU_DEP_3)
	v_dual_fmamk_f32 v59, v44, 0x3ee437d1, v50 :: v_dual_add_f32 v54, v54, v27
	v_dual_add_f32 v0, v7, v0 :: v_dual_fmac_f32 v45, 0xbeb8f4ab, v35
	s_delay_alu instid0(VALU_DEP_3) | instskip(SKIP_1) | instid1(VALU_DEP_3)
	v_dual_add_f32 v33, v8, v33 :: v_dual_fmamk_f32 v58, v35, 0x3f65296c, v49
	v_fma_f32 v50, 0x3ee437d1, v44, -v50
	v_dual_add_f32 v0, v11, v0 :: v_dual_fmamk_f32 v57, v44, 0x3f3d2fb0, v48
	s_delay_alu instid0(VALU_DEP_3) | instskip(SKIP_1) | instid1(VALU_DEP_3)
	v_dual_add_f32 v33, v12, v33 :: v_dual_fmamk_f32 v60, v35, 0x3f7ee86f, v51
	v_fma_f32 v46, 0x3f6eb680, v44, -v46
	v_dual_add_f32 v0, v15, v0 :: v_dual_fmac_f32 v47, 0xbf2c7751, v35
	s_delay_alu instid0(VALU_DEP_3) | instskip(NEXT) | instid1(VALU_DEP_4)
	v_add_f32_e32 v33, v16, v33
	v_add_f32_e32 v60, v60, v27
	s_delay_alu instid0(VALU_DEP_4) | instskip(NEXT) | instid1(VALU_DEP_4)
	v_dual_fmac_f32 v49, 0xbf65296c, v35 :: v_dual_add_f32 v46, v46, v28
	v_dual_add_f32 v0, v19, v0 :: v_dual_fmamk_f32 v61, v44, 0x3dbcf732, v52
	v_add_f32_e32 v50, v50, v28
	v_add_f32_e32 v59, v59, v28
	v_fma_f32 v48, 0x3f3d2fb0, v44, -v48
	s_delay_alu instid0(VALU_DEP_4) | instskip(SKIP_2) | instid1(VALU_DEP_4)
	v_dual_add_f32 v0, v25, v0 :: v_dual_add_f32 v33, v20, v33
	v_fmac_f32_e32 v51, 0xbf7ee86f, v35
	v_fma_f32 v52, 0x3dbcf732, v44, -v52
	v_add_f32_e32 v48, v48, v28
	s_delay_alu instid0(VALU_DEP_4) | instskip(SKIP_3) | instid1(VALU_DEP_4)
	v_dual_add_f32 v0, v31, v0 :: v_dual_add_f32 v33, v26, v33
	v_add_f32_e32 v45, v45, v27
	v_add_f32_e32 v61, v61, v28
	;; [unrolled: 1-line block ×6, first 2 shown]
	v_dual_add_f32 v55, v55, v28 :: v_dual_add_f32 v56, v56, v27
	s_delay_alu instid0(VALU_DEP_3) | instskip(SKIP_3) | instid1(VALU_DEP_4)
	v_dual_mul_f32 v75, 0x3f3d2fb0, v72 :: v_dual_add_f32 v62, v37, v33
	v_add_f32_e32 v49, v49, v27
	v_dual_add_f32 v33, v38, v0 :: v_dual_fmamk_f32 v38, v35, 0x3f763a35, v53
	v_dual_add_f32 v57, v57, v28 :: v_dual_add_f32 v58, v58, v27
	v_add_f32_e32 v0, v39, v62
	v_mul_f32_e32 v62, 0xbf1a4643, v43
	s_delay_alu instid0(VALU_DEP_4) | instskip(SKIP_2) | instid1(VALU_DEP_4)
	v_dual_mul_f32 v39, 0xbf763a35, v34 :: v_dual_add_f32 v38, v38, v27
	v_mul_f32_e32 v43, 0xbf7ba420, v43
	v_fma_f32 v68, 0xbf59a7d5, v44, -v68
	v_fmamk_f32 v64, v35, 0x3f4c4adb, v62
	v_mul_f32_e32 v65, 0xbf4c4adb, v34
	v_fmamk_f32 v63, v44, 0xbe8c1d8e, v39
	v_fma_f32 v39, 0xbe8c1d8e, v44, -v39
	v_fmac_f32_e32 v62, 0xbf4c4adb, v35
	v_add_f32_e32 v64, v64, v27
	v_dual_add_f32 v51, v51, v27 :: v_dual_fmamk_f32 v66, v44, 0xbf1a4643, v65
	v_fmac_f32_e32 v53, 0xbf763a35, v35
	v_fma_f32 v65, 0xbf1a4643, v44, -v65
	v_add_f32_e32 v63, v63, v28
	v_dual_fmamk_f32 v71, v35, 0x3e3c28d5, v43 :: v_dual_add_f32 v30, v30, v37
	s_delay_alu instid0(VALU_DEP_4) | instskip(NEXT) | instid1(VALU_DEP_4)
	v_dual_add_f32 v66, v66, v28 :: v_dual_add_f32 v53, v53, v27
	v_dual_add_f32 v65, v65, v28 :: v_dual_mul_f32 v34, 0xbe3c28d5, v34
	v_fmac_f32_e32 v43, 0xbe3c28d5, v35
	v_dual_add_f32 v39, v39, v28 :: v_dual_add_f32 v62, v62, v27
	v_dual_add_f32 v69, v69, v27 :: v_dual_add_f32 v68, v68, v28
	v_sub_f32_e32 v29, v29, v36
	v_add_f32_e32 v67, v67, v27
	v_fmamk_f32 v35, v74, 0x3f2c7751, v75
	v_fmamk_f32 v73, v44, 0xbf7ba420, v34
	v_fma_f32 v34, 0xbf7ba420, v44, -v34
	v_add_f32_e32 v71, v71, v27
	v_add_f32_e32 v27, v43, v27
	v_mul_f32_e32 v43, 0x3dbcf732, v72
	v_add_f32_e32 v37, v73, v28
	v_add_f32_e32 v28, v34, v28
	v_add_f32_e32 v34, v35, v54
	s_delay_alu instid0(VALU_DEP_4) | instskip(SKIP_2) | instid1(VALU_DEP_3)
	v_fmamk_f32 v54, v74, 0x3f7ee86f, v43
	v_mul_f32_e32 v44, 0xbf7ee86f, v29
	v_mul_f32_e32 v36, 0xbf2c7751, v29
	v_dual_mul_f32 v73, 0xbe3c28d5, v29 :: v_dual_add_f32 v54, v54, v56
	s_delay_alu instid0(VALU_DEP_2) | instskip(SKIP_1) | instid1(VALU_DEP_1)
	v_fmamk_f32 v35, v30, 0x3f3d2fb0, v36
	v_fma_f32 v36, 0x3f3d2fb0, v30, -v36
	v_dual_add_f32 v35, v35, v55 :: v_dual_add_f32 v36, v36, v46
	v_fmamk_f32 v46, v30, 0x3dbcf732, v44
	v_fma_f32 v44, 0x3dbcf732, v30, -v44
	s_delay_alu instid0(VALU_DEP_2) | instskip(SKIP_2) | instid1(VALU_DEP_4)
	v_add_f32_e32 v46, v46, v57
	v_mul_f32_e32 v57, 0xbf4c4adb, v29
	v_mul_f32_e32 v55, 0xbf1a4643, v72
	v_dual_fmac_f32 v43, 0xbf7ee86f, v74 :: v_dual_add_f32 v44, v44, v48
	s_delay_alu instid0(VALU_DEP_2) | instskip(NEXT) | instid1(VALU_DEP_1)
	v_fmamk_f32 v56, v74, 0x3f4c4adb, v55
	v_add_f32_e32 v48, v56, v58
	v_fmamk_f32 v56, v30, 0xbf1a4643, v57
	v_fmac_f32_e32 v75, 0xbf2c7751, v74
	v_fma_f32 v57, 0xbf1a4643, v30, -v57
	v_add_f32_e32 v43, v43, v47
	v_mul_f32_e32 v47, 0xbf7ba420, v72
	v_dual_fmac_f32 v55, 0xbf4c4adb, v74 :: v_dual_add_f32 v56, v56, v59
	s_delay_alu instid0(VALU_DEP_4) | instskip(NEXT) | instid1(VALU_DEP_2)
	v_dual_add_f32 v45, v75, v45 :: v_dual_add_f32 v50, v57, v50
	v_dual_fmamk_f32 v58, v74, 0x3e3c28d5, v47 :: v_dual_add_f32 v49, v55, v49
	v_fmamk_f32 v57, v30, 0xbf7ba420, v73
	v_fmac_f32_e32 v47, 0xbe3c28d5, v74
	v_fma_f32 v59, 0xbf7ba420, v30, -v73
	s_delay_alu instid0(VALU_DEP_4) | instskip(NEXT) | instid1(VALU_DEP_4)
	v_dual_add_f32 v55, v58, v60 :: v_dual_mul_f32 v60, 0x3f06c442, v29
	v_dual_mul_f32 v58, 0xbf59a7d5, v72 :: v_dual_add_f32 v57, v57, v61
	s_delay_alu instid0(VALU_DEP_4) | instskip(NEXT) | instid1(VALU_DEP_2)
	v_add_f32_e32 v47, v47, v51
	v_fmamk_f32 v61, v74, 0xbf06c442, v58
	v_fmac_f32_e32 v58, 0x3f06c442, v74
	s_delay_alu instid0(VALU_DEP_1)
	v_dual_add_f32 v38, v61, v38 :: v_dual_add_f32 v53, v58, v53
	v_mul_f32_e32 v58, 0x3ee437d1, v72
	v_add_f32_e32 v51, v59, v52
	v_mul_f32_e32 v59, 0xbe8c1d8e, v72
	v_fmamk_f32 v52, v30, 0xbf59a7d5, v60
	v_fma_f32 v60, 0xbf59a7d5, v30, -v60
	v_mul_f32_e32 v73, 0x3f65296c, v29
	s_delay_alu instid0(VALU_DEP_3) | instskip(SKIP_1) | instid1(VALU_DEP_4)
	v_dual_fmamk_f32 v61, v74, 0xbf763a35, v59 :: v_dual_add_f32 v52, v52, v63
	v_mul_f32_e32 v63, 0x3f763a35, v29
	v_add_f32_e32 v39, v60, v39
	s_delay_alu instid0(VALU_DEP_3) | instskip(SKIP_2) | instid1(VALU_DEP_1)
	v_dual_mul_f32 v29, 0x3eb8f4ab, v29 :: v_dual_add_f32 v60, v61, v64
	v_fmamk_f32 v64, v74, 0xbf65296c, v58
	v_fmac_f32_e32 v58, 0x3f65296c, v74
	v_dual_fmac_f32 v59, 0x3f763a35, v74 :: v_dual_add_f32 v58, v58, v67
	v_add_f32_e32 v67, v23, v31
	v_fmamk_f32 v61, v30, 0xbe8c1d8e, v63
	v_sub_f32_e32 v23, v23, v31
	s_delay_alu instid0(VALU_DEP_4) | instskip(SKIP_1) | instid1(VALU_DEP_4)
	v_add_f32_e32 v59, v59, v62
	v_sub_f32_e32 v31, v24, v32
	v_dual_add_f32 v24, v24, v32 :: v_dual_add_f32 v61, v61, v66
	v_fma_f32 v66, 0x3ee437d1, v30, -v73
	s_delay_alu instid0(VALU_DEP_1) | instskip(SKIP_1) | instid1(VALU_DEP_1)
	v_add_f32_e32 v66, v66, v68
	v_fma_f32 v63, 0xbe8c1d8e, v30, -v63
	v_dual_add_f32 v62, v63, v65 :: v_dual_mul_f32 v65, 0x3f6eb680, v72
	v_dual_add_f32 v63, v64, v69 :: v_dual_fmamk_f32 v64, v30, 0x3ee437d1, v73
	s_delay_alu instid0(VALU_DEP_1) | instskip(SKIP_2) | instid1(VALU_DEP_3)
	v_dual_fmamk_f32 v69, v74, 0xbeb8f4ab, v65 :: v_dual_add_f32 v64, v64, v70
	v_fmamk_f32 v70, v30, 0x3f6eb680, v29
	v_fma_f32 v29, 0x3f6eb680, v30, -v29
	v_add_f32_e32 v68, v69, v71
	v_mul_f32_e32 v69, 0x3ee437d1, v67
	v_mul_f32_e32 v30, 0xbf65296c, v23
	s_delay_alu instid0(VALU_DEP_4) | instskip(NEXT) | instid1(VALU_DEP_3)
	v_dual_add_f32 v28, v29, v28 :: v_dual_mul_f32 v29, 0xbf1a4643, v67
	v_dual_fmamk_f32 v32, v31, 0x3f65296c, v69 :: v_dual_add_f32 v37, v70, v37
	s_delay_alu instid0(VALU_DEP_1) | instskip(NEXT) | instid1(VALU_DEP_3)
	v_add_f32_e32 v32, v32, v34
	v_fmamk_f32 v34, v31, 0x3f4c4adb, v29
	s_delay_alu instid0(VALU_DEP_1) | instskip(SKIP_1) | instid1(VALU_DEP_1)
	v_add_f32_e32 v34, v34, v54
	v_fmac_f32_e32 v65, 0x3eb8f4ab, v74
	v_add_f32_e32 v27, v65, v27
	v_fmamk_f32 v65, v24, 0x3ee437d1, v30
	v_fma_f32 v30, 0x3ee437d1, v24, -v30
	s_delay_alu instid0(VALU_DEP_2) | instskip(NEXT) | instid1(VALU_DEP_2)
	v_add_f32_e32 v35, v65, v35
	v_dual_mul_f32 v65, 0xbf4c4adb, v23 :: v_dual_add_f32 v30, v30, v36
	s_delay_alu instid0(VALU_DEP_1) | instskip(SKIP_3) | instid1(VALU_DEP_4)
	v_fmamk_f32 v54, v24, 0xbf1a4643, v65
	v_mul_f32_e32 v36, 0xbf7ba420, v67
	v_fmac_f32_e32 v29, 0xbf4c4adb, v31
	v_fma_f32 v65, 0xbf1a4643, v24, -v65
	v_add_f32_e32 v46, v54, v46
	s_delay_alu instid0(VALU_DEP_3) | instskip(NEXT) | instid1(VALU_DEP_3)
	v_dual_fmamk_f32 v70, v31, 0xbe3c28d5, v36 :: v_dual_add_f32 v29, v29, v43
	v_dual_add_f32 v43, v65, v44 :: v_dual_mul_f32 v54, 0xbe8c1d8e, v67
	v_fmac_f32_e32 v36, 0x3e3c28d5, v31
	s_delay_alu instid0(VALU_DEP_3) | instskip(NEXT) | instid1(VALU_DEP_2)
	v_dual_add_f32 v48, v70, v48 :: v_dual_fmac_f32 v69, 0xbf65296c, v31
	v_add_f32_e32 v36, v36, v49
	s_delay_alu instid0(VALU_DEP_2) | instskip(SKIP_1) | instid1(VALU_DEP_1)
	v_add_f32_e32 v45, v69, v45
	v_mul_f32_e32 v69, 0x3e3c28d5, v23
	v_fmamk_f32 v44, v24, 0xbf7ba420, v69
	v_fma_f32 v65, 0xbf7ba420, v24, -v69
	s_delay_alu instid0(VALU_DEP_2) | instskip(NEXT) | instid1(VALU_DEP_2)
	v_dual_fmamk_f32 v69, v31, 0xbf763a35, v54 :: v_dual_add_f32 v44, v44, v56
	v_dual_mul_f32 v56, 0x3f763a35, v23 :: v_dual_add_f32 v49, v65, v50
	v_mul_f32_e32 v50, 0x3f3d2fb0, v67
	s_delay_alu instid0(VALU_DEP_2) | instskip(SKIP_2) | instid1(VALU_DEP_3)
	v_fmamk_f32 v65, v24, 0xbe8c1d8e, v56
	v_fmac_f32_e32 v54, 0x3f763a35, v31
	v_fma_f32 v56, 0xbe8c1d8e, v24, -v56
	v_add_f32_e32 v57, v65, v57
	s_delay_alu instid0(VALU_DEP_3) | instskip(SKIP_2) | instid1(VALU_DEP_2)
	v_add_f32_e32 v47, v54, v47
	v_mul_f32_e32 v54, 0x3f6eb680, v67
	v_mul_f32_e32 v65, 0x3f2c7751, v23
	v_dual_add_f32 v51, v56, v51 :: v_dual_fmamk_f32 v70, v31, 0x3eb8f4ab, v54
	v_fmac_f32_e32 v54, 0xbeb8f4ab, v31
	s_delay_alu instid0(VALU_DEP_3) | instskip(SKIP_1) | instid1(VALU_DEP_3)
	v_fmamk_f32 v56, v24, 0x3f3d2fb0, v65
	v_fma_f32 v65, 0x3f3d2fb0, v24, -v65
	v_add_f32_e32 v54, v54, v59
	v_add_f32_e32 v55, v69, v55
	v_fmamk_f32 v69, v31, 0xbf2c7751, v50
	v_fmac_f32_e32 v50, 0x3f2c7751, v31
	v_dual_add_f32 v39, v65, v39 :: v_dual_add_f32 v52, v56, v52
	v_add_f32_e32 v56, v70, v60
	s_delay_alu instid0(VALU_DEP_4) | instskip(NEXT) | instid1(VALU_DEP_1)
	v_dual_add_f32 v38, v69, v38 :: v_dual_mul_f32 v69, 0xbeb8f4ab, v23
	v_dual_add_f32 v50, v50, v53 :: v_dual_fmamk_f32 v53, v24, 0x3f6eb680, v69
	v_fma_f32 v65, 0x3f6eb680, v24, -v69
	s_delay_alu instid0(VALU_DEP_2) | instskip(NEXT) | instid1(VALU_DEP_2)
	v_dual_mul_f32 v60, 0x3dbcf732, v67 :: v_dual_add_f32 v53, v53, v61
	v_add_f32_e32 v59, v65, v62
	v_mul_f32_e32 v61, 0xbf7ee86f, v23
	s_delay_alu instid0(VALU_DEP_3)
	v_fmamk_f32 v69, v31, 0x3f7ee86f, v60
	v_mul_f32_e32 v62, 0xbf59a7d5, v67
	v_fmac_f32_e32 v60, 0xbf7ee86f, v31
	v_mul_f32_e32 v23, 0xbf06c442, v23
	v_fmamk_f32 v65, v24, 0x3dbcf732, v61
	v_fma_f32 v61, 0x3dbcf732, v24, -v61
	s_delay_alu instid0(VALU_DEP_2)
	v_add_f32_e32 v64, v65, v64
	v_add_f32_e32 v65, v21, v25
	v_sub_f32_e32 v21, v21, v25
	v_dual_fmamk_f32 v67, v31, 0x3f06c442, v62 :: v_dual_add_f32 v58, v60, v58
	v_add_f32_e32 v60, v61, v66
	v_fmamk_f32 v66, v24, 0xbf59a7d5, v23
	v_dual_fmac_f32 v62, 0xbf06c442, v31 :: v_dual_sub_f32 v25, v22, v26
	v_fma_f32 v23, 0xbf59a7d5, v24, -v23
	v_add_f32_e32 v22, v22, v26
	v_mul_f32_e32 v24, 0xbf7ee86f, v21
	v_mul_f32_e32 v31, 0x3dbcf732, v65
	v_add_f32_e32 v26, v66, v37
	v_add_f32_e32 v27, v62, v27
	v_dual_add_f32 v23, v23, v28 :: v_dual_mul_f32 v66, 0x3f763a35, v21
	s_delay_alu instid0(VALU_DEP_4) | instskip(SKIP_3) | instid1(VALU_DEP_4)
	v_fmamk_f32 v37, v25, 0x3f7ee86f, v31
	v_fmamk_f32 v28, v22, 0x3dbcf732, v24
	v_mul_f32_e32 v62, 0xbf7ba420, v65
	v_fma_f32 v24, 0x3dbcf732, v22, -v24
	v_dual_fmac_f32 v31, 0xbf7ee86f, v25 :: v_dual_add_f32 v32, v37, v32
	s_delay_alu instid0(VALU_DEP_4)
	v_add_f32_e32 v28, v28, v35
	v_add_f32_e32 v63, v69, v63
	v_fmamk_f32 v35, v25, 0x3e3c28d5, v62
	v_dual_mul_f32 v37, 0xbe3c28d5, v21 :: v_dual_add_f32 v24, v24, v30
	v_mul_f32_e32 v30, 0xbe8c1d8e, v65
	v_fmac_f32_e32 v62, 0xbe3c28d5, v25
	s_delay_alu instid0(VALU_DEP_3) | instskip(SKIP_1) | instid1(VALU_DEP_3)
	v_dual_add_f32 v34, v35, v34 :: v_dual_fmamk_f32 v35, v22, 0xbf7ba420, v37
	v_fma_f32 v37, 0xbf7ba420, v22, -v37
	v_add_f32_e32 v29, v62, v29
	v_mul_f32_e32 v62, 0x3eb8f4ab, v21
	v_add_f32_e32 v31, v31, v45
	v_fmamk_f32 v45, v25, 0xbf763a35, v30
	v_dual_add_f32 v35, v35, v46 :: v_dual_mul_f32 v46, 0x3f6eb680, v65
	v_dual_add_f32 v37, v37, v43 :: v_dual_fmac_f32 v30, 0x3f763a35, v25
	s_delay_alu instid0(VALU_DEP_3) | instskip(SKIP_2) | instid1(VALU_DEP_4)
	v_add_f32_e32 v43, v45, v48
	v_fmamk_f32 v45, v22, 0xbe8c1d8e, v66
	v_fma_f32 v48, 0xbe8c1d8e, v22, -v66
	v_add_f32_e32 v30, v30, v36
	s_delay_alu instid0(VALU_DEP_3) | instskip(NEXT) | instid1(VALU_DEP_3)
	v_add_f32_e32 v44, v45, v44
	v_dual_fmamk_f32 v45, v25, 0xbeb8f4ab, v46 :: v_dual_add_f32 v36, v48, v49
	v_mul_f32_e32 v49, 0x3ee437d1, v65
	v_dual_fmac_f32 v46, 0x3eb8f4ab, v25 :: v_dual_add_f32 v61, v67, v68
	s_delay_alu instid0(VALU_DEP_3) | instskip(SKIP_2) | instid1(VALU_DEP_4)
	v_dual_add_f32 v45, v45, v55 :: v_dual_fmamk_f32 v48, v22, 0x3f6eb680, v62
	v_fma_f32 v55, 0x3f6eb680, v22, -v62
	v_mul_f32_e32 v62, 0xbf65296c, v21
	v_add_f32_e32 v46, v46, v47
	s_delay_alu instid0(VALU_DEP_3)
	v_dual_add_f32 v48, v48, v57 :: v_dual_add_f32 v47, v55, v51
	v_fmamk_f32 v57, v25, 0x3f65296c, v49
	v_mul_f32_e32 v51, 0xbf59a7d5, v65
	v_fmamk_f32 v55, v22, 0x3ee437d1, v62
	v_fmac_f32_e32 v49, 0xbf65296c, v25
	v_mul_f32_e32 v66, 0xbf06c442, v21
	v_add_f32_e32 v38, v57, v38
	v_fma_f32 v57, 0x3ee437d1, v22, -v62
	v_fmamk_f32 v62, v25, 0x3f06c442, v51
	v_dual_add_f32 v49, v49, v50 :: v_dual_add_f32 v52, v55, v52
	v_fmamk_f32 v55, v22, 0xbf59a7d5, v66
	s_delay_alu instid0(VALU_DEP_3)
	v_dual_add_f32 v39, v57, v39 :: v_dual_add_f32 v50, v62, v56
	v_mul_f32_e32 v56, 0xbf1a4643, v65
	v_fmac_f32_e32 v51, 0xbf06c442, v25
	v_fma_f32 v62, 0xbf59a7d5, v22, -v66
	v_mul_f32_e32 v57, 0x3f4c4adb, v21
	v_add_f32_e32 v53, v55, v53
	v_fmamk_f32 v55, v25, 0xbf4c4adb, v56
	v_add_f32_e32 v51, v51, v54
	v_dual_add_f32 v59, v62, v59 :: v_dual_fmac_f32 v56, 0x3f4c4adb, v25
	v_mul_f32_e32 v62, 0x3f3d2fb0, v65
	v_fmamk_f32 v54, v22, 0xbf1a4643, v57
	v_fma_f32 v57, 0xbf1a4643, v22, -v57
	s_delay_alu instid0(VALU_DEP_4) | instskip(SKIP_4) | instid1(VALU_DEP_4)
	v_add_f32_e32 v56, v56, v58
	v_add_f32_e32 v58, v17, v19
	;; [unrolled: 1-line block ×3, first 2 shown]
	v_dual_fmamk_f32 v63, v25, 0xbf2c7751, v62 :: v_dual_add_f32 v54, v54, v64
	v_dual_add_f32 v57, v57, v60 :: v_dual_fmac_f32 v62, 0x3f2c7751, v25
	v_mul_f32_e32 v64, 0xbe8c1d8e, v58
	s_delay_alu instid0(VALU_DEP_3) | instskip(SKIP_1) | instid1(VALU_DEP_2)
	v_dual_add_f32 v60, v63, v61 :: v_dual_sub_f32 v63, v18, v20
	v_dual_sub_f32 v17, v17, v19 :: v_dual_add_f32 v18, v18, v20
	v_fmamk_f32 v20, v63, 0x3f763a35, v64
	s_delay_alu instid0(VALU_DEP_1) | instskip(SKIP_4) | instid1(VALU_DEP_3)
	v_add_f32_e32 v20, v20, v32
	v_mul_f32_e32 v32, 0x3f3d2fb0, v58
	v_mul_f32_e32 v21, 0x3f2c7751, v21
	v_add_f32_e32 v25, v62, v27
	v_fmac_f32_e32 v64, 0xbf763a35, v63
	v_fmamk_f32 v61, v22, 0x3f3d2fb0, v21
	v_fma_f32 v19, 0x3f3d2fb0, v22, -v21
	s_delay_alu instid0(VALU_DEP_2) | instskip(SKIP_2) | instid1(VALU_DEP_4)
	v_dual_mul_f32 v21, 0xbf763a35, v17 :: v_dual_add_f32 v22, v61, v26
	v_mul_f32_e32 v26, 0xbf59a7d5, v58
	v_mul_f32_e32 v27, 0x3f06c442, v17
	v_add_f32_e32 v19, v19, v23
	s_delay_alu instid0(VALU_DEP_4) | instskip(SKIP_2) | instid1(VALU_DEP_3)
	v_fmamk_f32 v23, v18, 0xbe8c1d8e, v21
	v_fma_f32 v21, 0xbe8c1d8e, v18, -v21
	v_mul_f32_e32 v61, 0xbf65296c, v17
	v_add_f32_e32 v23, v23, v28
	s_delay_alu instid0(VALU_DEP_3) | instskip(SKIP_3) | instid1(VALU_DEP_4)
	v_dual_fmamk_f32 v28, v63, 0xbf06c442, v26 :: v_dual_add_f32 v21, v21, v24
	v_fmac_f32_e32 v26, 0x3f06c442, v63
	v_fmamk_f32 v24, v18, 0xbf59a7d5, v27
	v_fma_f32 v27, 0xbf59a7d5, v18, -v27
	v_add_f32_e32 v28, v28, v34
	v_fmamk_f32 v34, v63, 0xbf2c7751, v32
	v_add_f32_e32 v26, v26, v29
	v_dual_add_f32 v24, v24, v35 :: v_dual_mul_f32 v35, 0x3f2c7751, v17
	v_mul_f32_e32 v29, 0x3ee437d1, v58
	s_delay_alu instid0(VALU_DEP_4) | instskip(SKIP_1) | instid1(VALU_DEP_4)
	v_dual_add_f32 v27, v27, v37 :: v_dual_add_f32 v34, v34, v43
	v_fmac_f32_e32 v32, 0x3f2c7751, v63
	v_fmamk_f32 v37, v18, 0x3f3d2fb0, v35
	v_fma_f32 v35, 0x3f3d2fb0, v18, -v35
	v_fmamk_f32 v43, v63, 0x3f65296c, v29
	s_delay_alu instid0(VALU_DEP_4) | instskip(NEXT) | instid1(VALU_DEP_3)
	v_dual_fmac_f32 v29, 0xbf65296c, v63 :: v_dual_add_f32 v30, v32, v30
	v_add_f32_e32 v32, v35, v36
	s_delay_alu instid0(VALU_DEP_3) | instskip(SKIP_3) | instid1(VALU_DEP_4)
	v_dual_add_f32 v35, v43, v45 :: v_dual_fmamk_f32 v36, v18, 0x3ee437d1, v61
	v_mul_f32_e32 v43, 0xbf7ba420, v58
	v_add_f32_e32 v31, v64, v31
	v_mul_f32_e32 v45, 0xbe3c28d5, v17
	v_dual_add_f32 v29, v29, v46 :: v_dual_add_f32 v36, v36, v48
	s_delay_alu instid0(VALU_DEP_4) | instskip(SKIP_1) | instid1(VALU_DEP_4)
	v_fmamk_f32 v48, v63, 0x3e3c28d5, v43
	v_fmac_f32_e32 v43, 0xbe3c28d5, v63
	v_fmamk_f32 v46, v18, 0xbf7ba420, v45
	v_fma_f32 v45, 0xbf7ba420, v18, -v45
	s_delay_alu instid0(VALU_DEP_4) | instskip(SKIP_1) | instid1(VALU_DEP_4)
	v_dual_add_f32 v38, v48, v38 :: v_dual_add_f32 v37, v37, v44
	v_fma_f32 v44, 0x3ee437d1, v18, -v61
	v_add_f32_e32 v46, v46, v52
	s_delay_alu instid0(VALU_DEP_4) | instskip(NEXT) | instid1(VALU_DEP_3)
	v_dual_mul_f32 v52, 0x3f7ee86f, v17 :: v_dual_add_f32 v39, v45, v39
	v_dual_mul_f32 v45, 0x3f6eb680, v58 :: v_dual_add_f32 v44, v44, v47
	v_mul_f32_e32 v47, 0x3dbcf732, v58
	v_mul_f32_e32 v61, 0xbeb8f4ab, v17
	;; [unrolled: 1-line block ×3, first 2 shown]
	v_add_f32_e32 v43, v43, v49
	v_fmamk_f32 v49, v18, 0x3dbcf732, v52
	s_delay_alu instid0(VALU_DEP_1) | instskip(NEXT) | instid1(VALU_DEP_1)
	v_dual_fmamk_f32 v48, v63, 0xbf7ee86f, v47 :: v_dual_add_f32 v49, v49, v53
	v_add_f32_e32 v48, v48, v50
	v_fma_f32 v50, 0x3dbcf732, v18, -v52
	v_fmamk_f32 v52, v63, 0x3eb8f4ab, v45
	v_fmac_f32_e32 v45, 0xbeb8f4ab, v63
	v_dual_mul_f32 v53, 0xbf1a4643, v58 :: v_dual_fmamk_f32 v58, v18, 0xbf1a4643, v17
	v_fma_f32 v17, 0xbf1a4643, v18, -v17
	s_delay_alu instid0(VALU_DEP_3)
	v_dual_add_f32 v50, v50, v59 :: v_dual_add_f32 v45, v45, v56
	v_add_f32_e32 v56, v13, v15
	v_sub_f32_e32 v13, v13, v15
	v_sub_f32_e32 v15, v14, v16
	v_dual_add_f32 v14, v14, v16 :: v_dual_fmac_f32 v47, 0x3f7ee86f, v63
	v_add_f32_e32 v22, v58, v22
	s_delay_alu instid0(VALU_DEP_4) | instskip(NEXT) | instid1(VALU_DEP_3)
	v_dual_mul_f32 v16, 0xbf4c4adb, v13 :: v_dual_add_f32 v17, v17, v19
	v_add_f32_e32 v47, v47, v51
	v_dual_add_f32 v51, v52, v55 :: v_dual_fmamk_f32 v52, v18, 0x3f6eb680, v61
	v_fma_f32 v55, 0x3f6eb680, v18, -v61
	s_delay_alu instid0(VALU_DEP_2) | instskip(SKIP_1) | instid1(VALU_DEP_1)
	v_dual_mul_f32 v19, 0xbe8c1d8e, v56 :: v_dual_add_f32 v52, v52, v54
	v_fmamk_f32 v54, v63, 0x3f4c4adb, v53
	v_dual_fmac_f32 v53, 0xbf4c4adb, v63 :: v_dual_add_f32 v54, v54, v60
	s_delay_alu instid0(VALU_DEP_1) | instskip(SKIP_2) | instid1(VALU_DEP_1)
	v_add_f32_e32 v25, v53, v25
	v_fmamk_f32 v53, v14, 0xbf1a4643, v16
	v_fma_f32 v16, 0xbf1a4643, v14, -v16
	v_dual_add_f32 v23, v53, v23 :: v_dual_add_f32 v16, v16, v21
	v_mul_f32_e32 v21, 0x3f6eb680, v56
	s_delay_alu instid0(VALU_DEP_1) | instskip(SKIP_3) | instid1(VALU_DEP_1)
	v_fmamk_f32 v58, v15, 0x3eb8f4ab, v21
	v_mul_f32_e32 v53, 0x3f763a35, v13
	v_add_f32_e32 v55, v55, v57
	v_mul_f32_e32 v57, 0xbf1a4643, v56
	v_fmamk_f32 v18, v15, 0x3f4c4adb, v57
	s_delay_alu instid0(VALU_DEP_1) | instskip(NEXT) | instid1(VALU_DEP_1)
	v_dual_fmac_f32 v57, 0xbf4c4adb, v15 :: v_dual_add_f32 v18, v18, v20
	v_dual_fmamk_f32 v20, v15, 0xbf763a35, v19 :: v_dual_add_f32 v31, v57, v31
	v_fmac_f32_e32 v19, 0x3f763a35, v15
	v_mul_f32_e32 v57, 0xbeb8f4ab, v13
	s_delay_alu instid0(VALU_DEP_3) | instskip(SKIP_2) | instid1(VALU_DEP_2)
	v_dual_fmac_f32 v21, 0xbeb8f4ab, v15 :: v_dual_add_f32 v20, v20, v28
	v_fmamk_f32 v28, v14, 0xbe8c1d8e, v53
	v_fma_f32 v53, 0xbe8c1d8e, v14, -v53
	v_dual_add_f32 v21, v21, v30 :: v_dual_add_f32 v24, v28, v24
	v_add_f32_e32 v28, v58, v34
	v_dual_mul_f32 v34, 0xbf59a7d5, v56 :: v_dual_add_f32 v19, v19, v26
	s_delay_alu instid0(VALU_DEP_4) | instskip(SKIP_1) | instid1(VALU_DEP_3)
	v_dual_add_f32 v26, v53, v27 :: v_dual_fmamk_f32 v27, v14, 0x3f6eb680, v57
	v_fma_f32 v53, 0x3f6eb680, v14, -v57
	v_fmamk_f32 v57, v15, 0x3f06c442, v34
	v_fmac_f32_e32 v34, 0xbf06c442, v15
	s_delay_alu instid0(VALU_DEP_3) | instskip(SKIP_2) | instid1(VALU_DEP_4)
	v_add_f32_e32 v30, v53, v32
	v_dual_mul_f32 v32, 0x3dbcf732, v56 :: v_dual_add_f32 v27, v27, v37
	v_mul_f32_e32 v37, 0xbf06c442, v13
	v_add_f32_e32 v29, v34, v29
	v_add_f32_e32 v35, v57, v35
	s_delay_alu instid0(VALU_DEP_3) | instskip(SKIP_1) | instid1(VALU_DEP_2)
	v_fmamk_f32 v53, v14, 0xbf59a7d5, v37
	v_fma_f32 v37, 0xbf59a7d5, v14, -v37
	v_dual_add_f32 v36, v53, v36 :: v_dual_mul_f32 v53, 0x3f7ee86f, v13
	s_delay_alu instid0(VALU_DEP_2) | instskip(NEXT) | instid1(VALU_DEP_2)
	v_add_f32_e32 v34, v37, v44
	v_fmamk_f32 v44, v14, 0x3dbcf732, v53
	v_fma_f32 v53, 0x3dbcf732, v14, -v53
	s_delay_alu instid0(VALU_DEP_2) | instskip(SKIP_1) | instid1(VALU_DEP_3)
	v_dual_add_f32 v44, v44, v46 :: v_dual_fmamk_f32 v57, v15, 0xbf7ee86f, v32
	v_fmac_f32_e32 v32, 0x3f7ee86f, v15
	v_add_f32_e32 v39, v53, v39
	s_delay_alu instid0(VALU_DEP_3) | instskip(NEXT) | instid1(VALU_DEP_3)
	v_dual_add_f32 v37, v57, v38 :: v_dual_mul_f32 v38, 0x3f3d2fb0, v56
	v_dual_mul_f32 v57, 0xbf2c7751, v13 :: v_dual_add_f32 v32, v32, v43
	s_delay_alu instid0(VALU_DEP_2) | instskip(NEXT) | instid1(VALU_DEP_2)
	v_fmamk_f32 v58, v15, 0x3f2c7751, v38
	v_fmamk_f32 v43, v14, 0x3f3d2fb0, v57
	v_fmac_f32_e32 v38, 0xbf2c7751, v15
	v_fma_f32 v53, 0x3f3d2fb0, v14, -v57
	s_delay_alu instid0(VALU_DEP_4) | instskip(NEXT) | instid1(VALU_DEP_4)
	v_add_f32_e32 v46, v58, v48
	v_dual_mul_f32 v48, 0xbf7ba420, v56 :: v_dual_add_f32 v43, v43, v49
	s_delay_alu instid0(VALU_DEP_4) | instskip(SKIP_2) | instid1(VALU_DEP_4)
	v_dual_mul_f32 v49, 0xbe3c28d5, v13 :: v_dual_add_f32 v38, v38, v47
	v_mul_f32_e32 v13, 0x3f65296c, v13
	v_dual_add_f32 v47, v53, v50 :: v_dual_mul_f32 v50, 0x3ee437d1, v56
	v_fmamk_f32 v57, v15, 0x3e3c28d5, v48
	v_fmac_f32_e32 v48, 0xbe3c28d5, v15
	s_delay_alu instid0(VALU_DEP_3) | instskip(SKIP_3) | instid1(VALU_DEP_3)
	v_fmamk_f32 v56, v15, 0xbf65296c, v50
	v_fmamk_f32 v53, v14, 0xbf7ba420, v49
	v_fma_f32 v49, 0xbf7ba420, v14, -v49
	v_fmac_f32_e32 v50, 0x3f65296c, v15
	v_add_f32_e32 v52, v53, v52
	v_add_f32_e32 v53, v9, v11
	v_sub_f32_e32 v9, v9, v11
	v_sub_f32_e32 v11, v10, v12
	v_add_f32_e32 v10, v10, v12
	v_add_f32_e32 v25, v50, v25
	v_mul_f32_e32 v15, 0xbf59a7d5, v53
	v_dual_add_f32 v45, v48, v45 :: v_dual_add_f32 v48, v49, v55
	v_dual_mul_f32 v50, 0x3ee437d1, v53 :: v_dual_add_f32 v49, v56, v54
	v_mul_f32_e32 v12, 0xbf06c442, v9
	v_fmamk_f32 v54, v14, 0x3ee437d1, v13
	v_fma_f32 v13, 0x3ee437d1, v14, -v13
	s_delay_alu instid0(VALU_DEP_2) | instskip(NEXT) | instid1(VALU_DEP_2)
	v_add_f32_e32 v14, v54, v22
	v_dual_fmamk_f32 v22, v11, 0x3f06c442, v15 :: v_dual_add_f32 v13, v13, v17
	v_fmamk_f32 v17, v10, 0xbf59a7d5, v12
	v_fma_f32 v12, 0xbf59a7d5, v10, -v12
	v_mul_f32_e32 v54, 0xbf7ee86f, v9
	s_delay_alu instid0(VALU_DEP_4) | instskip(NEXT) | instid1(VALU_DEP_4)
	v_add_f32_e32 v18, v22, v18
	v_dual_fmamk_f32 v22, v11, 0xbf65296c, v50 :: v_dual_add_f32 v17, v17, v23
	s_delay_alu instid0(VALU_DEP_4) | instskip(SKIP_1) | instid1(VALU_DEP_3)
	v_dual_mul_f32 v23, 0x3f65296c, v9 :: v_dual_add_f32 v12, v12, v16
	v_mul_f32_e32 v16, 0x3dbcf732, v53
	v_dual_fmac_f32 v15, 0xbf06c442, v11 :: v_dual_add_f32 v20, v22, v20
	s_delay_alu instid0(VALU_DEP_3) | instskip(SKIP_2) | instid1(VALU_DEP_4)
	v_fmamk_f32 v22, v10, 0x3ee437d1, v23
	v_fma_f32 v23, 0x3ee437d1, v10, -v23
	v_fmac_f32_e32 v50, 0x3f65296c, v11
	v_add_f32_e32 v15, v15, v31
	s_delay_alu instid0(VALU_DEP_4) | instskip(NEXT) | instid1(VALU_DEP_4)
	v_dual_fmamk_f32 v31, v11, 0x3f7ee86f, v16 :: v_dual_add_f32 v22, v22, v24
	v_dual_add_f32 v23, v23, v26 :: v_dual_fmac_f32 v16, 0xbf7ee86f, v11
	v_fmamk_f32 v26, v10, 0x3dbcf732, v54
	s_delay_alu instid0(VALU_DEP_3) | instskip(SKIP_3) | instid1(VALU_DEP_3)
	v_add_f32_e32 v24, v31, v28
	v_mul_f32_e32 v28, 0xbf1a4643, v53
	v_fma_f32 v31, 0x3dbcf732, v10, -v54
	v_add_f32_e32 v16, v16, v21
	v_dual_add_f32 v26, v26, v27 :: v_dual_fmamk_f32 v27, v11, 0xbf4c4adb, v28
	s_delay_alu instid0(VALU_DEP_3) | instskip(SKIP_2) | instid1(VALU_DEP_3)
	v_dual_fmac_f32 v28, 0x3f4c4adb, v11 :: v_dual_add_f32 v21, v31, v30
	v_mul_f32_e32 v31, 0x3f6eb680, v53
	v_dual_add_f32 v19, v50, v19 :: v_dual_mul_f32 v50, 0x3f4c4adb, v9
	v_dual_add_f32 v28, v28, v29 :: v_dual_add_f32 v51, v57, v51
	s_delay_alu instid0(VALU_DEP_2) | instskip(SKIP_2) | instid1(VALU_DEP_3)
	v_dual_add_f32 v27, v27, v35 :: v_dual_fmamk_f32 v30, v10, 0xbf1a4643, v50
	v_fma_f32 v35, 0xbf1a4643, v10, -v50
	v_mul_f32_e32 v50, 0xbeb8f4ab, v9
	v_add_f32_e32 v30, v30, v36
	v_fmamk_f32 v36, v11, 0x3eb8f4ab, v31
	s_delay_alu instid0(VALU_DEP_4) | instskip(NEXT) | instid1(VALU_DEP_2)
	v_add_f32_e32 v29, v35, v34
	v_dual_add_f32 v35, v36, v37 :: v_dual_fmamk_f32 v36, v10, 0x3f6eb680, v50
	v_fmac_f32_e32 v31, 0xbeb8f4ab, v11
	v_mul_f32_e32 v34, 0xbf7ba420, v53
	v_fma_f32 v37, 0x3f6eb680, v10, -v50
	s_delay_alu instid0(VALU_DEP_4) | instskip(NEXT) | instid1(VALU_DEP_4)
	v_add_f32_e32 v36, v36, v44
	v_add_f32_e32 v31, v31, v32
	s_delay_alu instid0(VALU_DEP_4) | instskip(SKIP_2) | instid1(VALU_DEP_3)
	v_fmamk_f32 v50, v11, 0x3e3c28d5, v34
	v_mul_f32_e32 v54, 0xbe3c28d5, v9
	v_add_f32_e32 v32, v37, v39
	v_dual_fmac_f32 v34, 0xbe3c28d5, v11 :: v_dual_add_f32 v37, v50, v46
	s_delay_alu instid0(VALU_DEP_3) | instskip(SKIP_3) | instid1(VALU_DEP_4)
	v_fmamk_f32 v39, v10, 0xbf7ba420, v54
	v_mul_f32_e32 v44, 0x3f3d2fb0, v53
	v_fma_f32 v50, 0xbf7ba420, v10, -v54
	v_mul_f32_e32 v46, 0x3f2c7751, v9
	v_dual_add_f32 v34, v34, v38 :: v_dual_add_f32 v39, v39, v43
	s_delay_alu instid0(VALU_DEP_4) | instskip(NEXT) | instid1(VALU_DEP_4)
	v_fmamk_f32 v43, v11, 0xbf2c7751, v44
	v_dual_add_f32 v47, v50, v47 :: v_dual_mul_f32 v50, 0xbe8c1d8e, v53
	v_fmac_f32_e32 v44, 0x3f2c7751, v11
	s_delay_alu instid0(VALU_DEP_3) | instskip(SKIP_1) | instid1(VALU_DEP_3)
	v_dual_fmamk_f32 v38, v10, 0x3f3d2fb0, v46 :: v_dual_add_f32 v43, v43, v51
	v_fma_f32 v46, 0x3f3d2fb0, v10, -v46
	v_dual_add_f32 v44, v44, v45 :: v_dual_add_f32 v45, v5, v7
	s_delay_alu instid0(VALU_DEP_3) | instskip(SKIP_1) | instid1(VALU_DEP_4)
	v_dual_fmamk_f32 v51, v11, 0x3f763a35, v50 :: v_dual_add_f32 v38, v38, v52
	v_dual_mul_f32 v9, 0xbf763a35, v9 :: v_dual_fmac_f32 v50, 0xbf763a35, v11
	v_add_f32_e32 v46, v46, v48
	s_delay_alu instid0(VALU_DEP_3) | instskip(SKIP_1) | instid1(VALU_DEP_4)
	v_dual_add_f32 v48, v51, v49 :: v_dual_sub_f32 v51, v6, v8
	v_dual_mul_f32 v52, 0xbf7ba420, v45 :: v_dual_sub_f32 v5, v5, v7
	v_fmamk_f32 v49, v10, 0xbe8c1d8e, v9
	v_fma_f32 v7, 0xbe8c1d8e, v10, -v9
	v_add_f32_e32 v6, v6, v8
	s_delay_alu instid0(VALU_DEP_4) | instskip(SKIP_3) | instid1(VALU_DEP_4)
	v_fmamk_f32 v8, v51, 0x3e3c28d5, v52
	v_dual_mul_f32 v9, 0xbe3c28d5, v5 :: v_dual_fmac_f32 v52, 0xbe3c28d5, v51
	v_add_f32_e32 v10, v49, v14
	v_mul_f32_e32 v14, 0x3f6eb680, v45
	v_dual_add_f32 v8, v8, v18 :: v_dual_add_f32 v11, v50, v25
	s_delay_alu instid0(VALU_DEP_4)
	v_add_f32_e32 v15, v52, v15
	v_add_f32_e32 v7, v7, v13
	v_fmamk_f32 v13, v6, 0xbf7ba420, v9
	v_fma_f32 v9, 0xbf7ba420, v6, -v9
	v_mul_f32_e32 v18, 0x3eb8f4ab, v5
	v_dual_mul_f32 v25, 0x3f2c7751, v5 :: v_dual_lshlrev_b32 v50, 6, v40
	s_delay_alu instid0(VALU_DEP_4) | instskip(NEXT) | instid1(VALU_DEP_4)
	v_add_f32_e32 v13, v13, v17
	v_add_f32_e32 v49, v9, v12
	s_delay_alu instid0(VALU_DEP_4) | instskip(SKIP_3) | instid1(VALU_DEP_3)
	v_fmamk_f32 v9, v6, 0x3f6eb680, v18
	v_fma_f32 v18, 0x3f6eb680, v6, -v18
	v_fmamk_f32 v17, v51, 0xbeb8f4ab, v14
	v_fmac_f32_e32 v14, 0x3eb8f4ab, v51
	v_add_f32_e32 v18, v18, v23
	s_delay_alu instid0(VALU_DEP_3) | instskip(SKIP_3) | instid1(VALU_DEP_2)
	v_dual_mul_f32 v12, 0xbf59a7d5, v45 :: v_dual_add_f32 v17, v17, v20
	v_add_f32_e32 v20, v9, v22
	v_mul_f32_e32 v22, 0xbf06c442, v5
	v_dual_add_f32 v14, v14, v19 :: v_dual_mul_f32 v19, 0x3f3d2fb0, v45
	v_fmamk_f32 v23, v6, 0xbf59a7d5, v22
	v_fma_f32 v22, 0xbf59a7d5, v6, -v22
	v_fmamk_f32 v9, v51, 0x3f06c442, v12
	s_delay_alu instid0(VALU_DEP_3) | instskip(SKIP_2) | instid1(VALU_DEP_3)
	v_dual_fmac_f32 v12, 0xbf06c442, v51 :: v_dual_add_f32 v53, v23, v26
	v_mul_f32_e32 v23, 0xbf1a4643, v45
	v_mul_f32_e32 v26, 0x3ee437d1, v45
	v_add_f32_e32 v12, v12, v16
	v_dual_add_f32 v16, v22, v21 :: v_dual_add_f32 v9, v9, v24
	v_fmamk_f32 v22, v6, 0x3f3d2fb0, v25
	v_fmamk_f32 v24, v51, 0xbf2c7751, v19
	v_fmac_f32_e32 v19, 0x3f2c7751, v51
	s_delay_alu instid0(VALU_DEP_2) | instskip(NEXT) | instid1(VALU_DEP_4)
	v_add_f32_e32 v21, v24, v27
	v_dual_add_f32 v27, v22, v30 :: v_dual_fmamk_f32 v22, v51, 0x3f4c4adb, v23
	s_delay_alu instid0(VALU_DEP_1) | instskip(SKIP_2) | instid1(VALU_DEP_2)
	v_dual_add_f32 v19, v19, v28 :: v_dual_add_f32 v22, v22, v35
	v_fma_f32 v24, 0x3f3d2fb0, v6, -v25
	v_mul_f32_e32 v25, 0xbf4c4adb, v5
	v_add_f32_e32 v28, v24, v29
	s_delay_alu instid0(VALU_DEP_2) | instskip(NEXT) | instid1(VALU_DEP_1)
	v_fmamk_f32 v24, v6, 0xbf1a4643, v25
	v_dual_add_f32 v29, v24, v36 :: v_dual_fmamk_f32 v24, v51, 0xbf65296c, v26
	v_fmac_f32_e32 v26, 0x3f65296c, v51
	v_mul_f32_e32 v36, 0xbf763a35, v5
	s_delay_alu instid0(VALU_DEP_3) | instskip(NEXT) | instid1(VALU_DEP_3)
	v_add_f32_e32 v24, v24, v37
	v_add_f32_e32 v26, v26, v34
	s_delay_alu instid0(VALU_DEP_3) | instskip(SKIP_3) | instid1(VALU_DEP_3)
	v_fma_f32 v34, 0xbe8c1d8e, v6, -v36
	v_fmac_f32_e32 v23, 0xbf4c4adb, v51
	v_mul_f32_e32 v30, 0x3f65296c, v5
	v_mul_f32_e32 v5, 0x3f7ee86f, v5
	v_add_f32_e32 v23, v23, v31
	s_delay_alu instid0(VALU_DEP_3) | instskip(SKIP_1) | instid1(VALU_DEP_2)
	v_fmamk_f32 v31, v6, 0x3ee437d1, v30
	v_fma_f32 v30, 0x3ee437d1, v6, -v30
	v_add_f32_e32 v37, v31, v39
	s_delay_alu instid0(VALU_DEP_2) | instskip(SKIP_2) | instid1(VALU_DEP_2)
	v_add_f32_e32 v30, v30, v47
	v_fma_f32 v25, 0xbf1a4643, v6, -v25
	v_fmamk_f32 v31, v6, 0xbe8c1d8e, v36
	v_add_f32_e32 v35, v25, v32
	v_mul_f32_e32 v25, 0xbe8c1d8e, v45
	s_delay_alu instid0(VALU_DEP_1) | instskip(NEXT) | instid1(VALU_DEP_1)
	v_fmamk_f32 v32, v51, 0x3f763a35, v25
	v_dual_add_f32 v32, v32, v43 :: v_dual_add_f32 v43, v31, v38
	v_fmamk_f32 v38, v6, 0x3dbcf732, v5
	v_fmac_f32_e32 v25, 0xbf763a35, v51
	v_mad_u32_u24 v31, 0x44, v40, 0
	s_delay_alu instid0(VALU_DEP_3) | instskip(NEXT) | instid1(VALU_DEP_3)
	v_add_f32_e32 v10, v38, v10
	v_dual_mul_f32 v36, 0x3dbcf732, v45 :: v_dual_add_f32 v25, v25, v44
	v_add_f32_e32 v44, v34, v46
	s_delay_alu instid0(VALU_DEP_2) | instskip(SKIP_2) | instid1(VALU_DEP_2)
	v_fmamk_f32 v34, v51, 0xbf7ee86f, v36
	v_fmac_f32_e32 v36, 0x3f7ee86f, v51
	v_fma_f32 v5, 0x3dbcf732, v6, -v5
	v_dual_add_f32 v11, v36, v11 :: v_dual_add_f32 v6, v34, v48
	ds_store_2addr_b32 v31, v33, v8 offset1:1
	ds_store_2addr_b32 v31, v17, v9 offset0:2 offset1:3
	ds_store_2addr_b32 v31, v21, v22 offset0:4 offset1:5
	;; [unrolled: 1-line block ×7, first 2 shown]
	v_and_b32_e32 v6, 0xff, v40
	v_add_f32_e32 v36, v5, v7
	v_sub_nc_u32_e32 v32, v31, v50
	v_lshl_add_u32 v26, v42, 2, 0
	v_lshl_add_u32 v25, v41, 2, 0
	v_mul_lo_u16 v6, 0xf1, v6
	ds_store_b32 v31, v15 offset:64
	v_add_nc_u32_e32 v5, 0x400, v32
	global_wb scope:SCOPE_SE
	s_wait_dscnt 0x0
	s_wait_kmcnt 0x0
	s_barrier_signal -1
	v_lshrrev_b16 v6, 12, v6
	s_barrier_wait -1
	global_inv scope:SCOPE_SE
	ds_load_b32 v8, v26
	v_add_nc_u32_e32 v48, 0x600, v32
	v_mul_lo_u16 v7, v6, 17
	v_add_nc_u32_e32 v54, 0xa00, v32
	ds_load_b32 v91, v32
	ds_load_b32 v92, v25
	ds_load_2addr_b32 v[21:22], v5 offset0:50 offset1:152
	ds_load_2addr_b32 v[23:24], v48 offset0:126 offset1:228
	;; [unrolled: 1-line block ×3, first 2 shown]
	v_add_nc_u32_e32 v9, 0xc00, v32
	v_add_nc_u32_e32 v11, 0x1000, v32
	v_sub_nc_u16 v7, v40, v7
	v_add_nc_u32_e32 v57, 0x1400, v32
	v_add_nc_u32_e32 v12, 0x1600, v32
	ds_load_2addr_b32 v[38:39], v9 offset0:150 offset1:252
	ds_load_2addr_b32 v[45:46], v11 offset0:98 offset1:200
	ds_load_2addr_b32 v[51:52], v57 offset0:46 offset1:148
	ds_load_2addr_b32 v[79:80], v12 offset0:122 offset1:224
	v_and_b32_e32 v7, 0xff, v7
	global_wb scope:SCOPE_SE
	s_wait_dscnt 0x0
	s_barrier_signal -1
	s_barrier_wait -1
	global_inv scope:SCOPE_SE
	ds_store_2addr_b32 v31, v0, v13 offset1:1
	ds_store_2addr_b32 v31, v20, v53 offset0:2 offset1:3
	ds_store_2addr_b32 v31, v27, v29 offset0:4 offset1:5
	;; [unrolled: 1-line block ×3, first 2 shown]
	v_lshlrev_b32_e32 v0, 7, v7
	ds_store_2addr_b32 v31, v10, v36 offset0:8 offset1:9
	ds_store_2addr_b32 v31, v44, v30 offset0:10 offset1:11
	;; [unrolled: 1-line block ×4, first 2 shown]
	ds_store_b32 v31, v49 offset:64
	global_wb scope:SCOPE_SE
	s_wait_dscnt 0x0
	s_barrier_signal -1
	s_barrier_wait -1
	global_inv scope:SCOPE_SE
	s_clause 0x7
	global_load_b128 v[13:16], v0, s[4:5]
	global_load_b128 v[17:20], v0, s[4:5] offset:16
	global_load_b128 v[27:30], v0, s[4:5] offset:32
	;; [unrolled: 1-line block ×7, first 2 shown]
	ds_load_b32 v0, v26
	ds_load_b32 v10, v25
	ds_load_2addr_b32 v[35:36], v5 offset0:50 offset1:152
	ds_load_b32 v47, v32
	ds_load_2addr_b32 v[55:56], v48 offset0:126 offset1:228
	ds_load_2addr_b32 v[81:82], v54 offset0:74 offset1:176
	;; [unrolled: 1-line block ×5, first 2 shown]
	v_and_b32_e32 v6, 0xffff, v6
	v_sub_nc_u32_e32 v50, 0, v50
	s_delay_alu instid0(VALU_DEP_2) | instskip(NEXT) | instid1(VALU_DEP_2)
	v_mul_u32_u24_e32 v6, 0x484, v6
	v_add_nc_u32_e32 v50, v31, v50
                                        ; implicit-def: $vgpr31
	s_wait_loadcnt 0x7
	v_mul_f32_e32 v53, v92, v16
	s_wait_dscnt 0x8
	v_mul_f32_e32 v37, v0, v14
	s_wait_loadcnt 0x6
	v_dual_mul_f32 v48, v21, v18 :: v_dual_mul_f32 v43, v22, v20
	s_wait_dscnt 0x7
	v_dual_mul_f32 v57, v8, v14 :: v_dual_mul_f32 v14, v10, v16
	v_fma_f32 v58, v8, v13, -v37
	s_wait_dscnt 0x6
	v_dual_fmac_f32 v48, v35, v17 :: v_dual_fmac_f32 v43, v36, v19
	ds_load_2addr_b32 v[89:90], v12 offset0:122 offset1:224
	v_dual_fmac_f32 v57, v0, v13 :: v_dual_mul_f32 v0, v35, v18
	v_fma_f32 v54, v92, v15, -v14
	v_dual_fmac_f32 v53, v10, v15 :: v_dual_add_f32 v8, v91, v58
	s_wait_loadcnt_dscnt 0x505
	v_mul_f32_e32 v10, v55, v28
	v_fma_f32 v49, v21, v17, -v0
	s_wait_loadcnt 0x4
	v_dual_mul_f32 v0, v36, v20 :: v_dual_mul_f32 v15, v34, v62
	v_add_f32_e32 v8, v8, v54
	v_mul_f32_e32 v36, v23, v28
	v_fma_f32 v37, v23, v27, -v10
	s_wait_dscnt 0x4
	v_dual_mul_f32 v23, v24, v30 :: v_dual_mul_f32 v10, v81, v60
	s_wait_loadcnt 0x3
	v_mul_f32_e32 v21, v39, v66
	v_fma_f32 v44, v22, v19, -v0
	v_dual_add_f32 v0, v8, v49 :: v_dual_mul_f32 v19, v33, v60
	v_mul_f32_e32 v8, v56, v30
	v_dual_fmac_f32 v23, v56, v29 :: v_dual_fmac_f32 v36, v55, v27
	s_wait_dscnt 0x3
	v_fmac_f32_e32 v21, v84, v65
	v_fma_f32 v20, v33, v59, -v10
	s_wait_loadcnt 0x0
	v_dual_mul_f32 v10, v83, v64 :: v_dual_mul_f32 v55, v80, v78
	v_fmac_f32_e32 v19, v81, v59
	v_fma_f32 v24, v24, v29, -v8
	v_dual_add_f32 v0, v0, v44 :: v_dual_fmac_f32 v15, v82, v61
	s_delay_alu instid0(VALU_DEP_4)
	v_fma_f32 v18, v38, v63, -v10
	s_wait_dscnt 0x0
	v_dual_mul_f32 v10, v85, v68 :: v_dual_fmac_f32 v55, v90, v77
	v_mul_f32_e32 v8, v82, v62
	v_add_f32_e32 v0, v0, v37
	global_wb scope:SCOPE_SE
	v_fma_f32 v35, v45, v67, -v10
	v_sub_f32_e32 v13, v57, v55
	v_fma_f32 v17, v34, v61, -v8
	v_mul_f32_e32 v8, v84, v66
	v_mul_f32_e32 v10, v87, v72
	s_delay_alu instid0(VALU_DEP_4) | instskip(SKIP_1) | instid1(VALU_DEP_4)
	v_dual_mul_f32 v16, v38, v64 :: v_dual_mul_f32 v33, 0xbf7ee86f, v13
	v_mul_f32_e32 v38, v46, v70
	v_fma_f32 v22, v39, v65, -v8
	v_mul_f32_e32 v8, v86, v70
	v_mul_f32_e32 v34, v45, v68
	;; [unrolled: 1-line block ×3, first 2 shown]
	v_add_f32_e32 v0, v0, v24
	v_mul_f32_e32 v14, 0xbeb8f4ab, v13
	v_fma_f32 v39, v46, v69, -v8
	v_fma_f32 v46, v51, v71, -v10
	v_dual_mul_f32 v10, v89, v76 :: v_dual_fmac_f32 v45, v87, v71
	v_dual_fmac_f32 v16, v83, v63 :: v_dual_mul_f32 v63, 0xbf4c4adb, v13
	v_mul_f32_e32 v28, 0xbf2c7751, v13
	s_delay_alu instid0(VALU_DEP_3)
	v_fma_f32 v59, v79, v75, -v10
	s_barrier_signal -1
	s_barrier_wait -1
	global_inv scope:SCOPE_SE
	v_lshlrev_b32_e32 v7, 2, v7
	v_add_f32_e32 v70, v54, v59
	v_mul_f32_e32 v56, v79, v76
	s_delay_alu instid0(VALU_DEP_1) | instskip(NEXT) | instid1(VALU_DEP_1)
	v_fmac_f32_e32 v56, v89, v75
	v_sub_f32_e32 v68, v53, v56
	s_delay_alu instid0(VALU_DEP_1) | instskip(NEXT) | instid1(VALU_DEP_1)
	v_dual_mul_f32 v8, v88, v74 :: v_dual_mul_f32 v71, 0xbf2c7751, v68
	v_fma_f32 v51, v52, v73, -v8
	v_mul_f32_e32 v8, v90, v78
	s_delay_alu instid0(VALU_DEP_3) | instskip(SKIP_1) | instid1(VALU_DEP_3)
	v_fma_f32 v72, 0x3f3d2fb0, v70, -v71
	v_fmac_f32_e32 v71, 0x3f3d2fb0, v70
	v_fma_f32 v60, v80, v77, -v8
	s_delay_alu instid0(VALU_DEP_1) | instskip(NEXT) | instid1(VALU_DEP_1)
	v_add_f32_e32 v10, v58, v60
	v_fma_f32 v27, 0x3f6eb680, v10, -v14
	v_add_f32_e32 v0, v0, v20
	v_fma_f32 v61, 0x3dbcf732, v10, -v33
	v_fmac_f32_e32 v33, 0x3dbcf732, v10
	v_fma_f32 v65, 0xbf1a4643, v10, -v63
	s_delay_alu instid0(VALU_DEP_4) | instskip(NEXT) | instid1(VALU_DEP_4)
	v_dual_add_f32 v27, v91, v27 :: v_dual_add_f32 v0, v0, v17
	v_add_f32_e32 v61, v91, v61
	s_delay_alu instid0(VALU_DEP_4) | instskip(SKIP_1) | instid1(VALU_DEP_4)
	v_dual_add_f32 v33, v91, v33 :: v_dual_fmac_f32 v34, v85, v67
	v_fmac_f32_e32 v63, 0xbf1a4643, v10
	v_add_f32_e32 v0, v0, v18
	v_fma_f32 v29, 0x3f3d2fb0, v10, -v28
	v_dual_fmac_f32 v14, 0x3f6eb680, v10 :: v_dual_add_f32 v27, v72, v27
	s_delay_alu instid0(VALU_DEP_3) | instskip(NEXT) | instid1(VALU_DEP_3)
	v_dual_add_f32 v63, v91, v63 :: v_dual_add_f32 v0, v0, v22
	v_dual_add_f32 v29, v91, v29 :: v_dual_mul_f32 v52, v52, v74
	s_delay_alu instid0(VALU_DEP_3) | instskip(SKIP_1) | instid1(VALU_DEP_4)
	v_add_f32_e32 v14, v91, v14
	v_mul_f32_e32 v72, 0xbe3c28d5, v68
	v_dual_add_f32 v0, v0, v35 :: v_dual_add_f32 v65, v91, v65
	s_delay_alu instid0(VALU_DEP_4) | instskip(NEXT) | instid1(VALU_DEP_4)
	v_dual_fmac_f32 v52, v88, v73 :: v_dual_mul_f32 v73, 0xbf4c4adb, v68
	v_add_f32_e32 v14, v71, v14
	s_delay_alu instid0(VALU_DEP_3) | instskip(SKIP_1) | instid1(VALU_DEP_4)
	v_add_f32_e32 v0, v0, v39
	v_mul_f32_e32 v62, 0xbf763a35, v13
	v_fma_f32 v71, 0xbf1a4643, v70, -v73
	v_fmac_f32_e32 v73, 0xbf1a4643, v70
	s_delay_alu instid0(VALU_DEP_4) | instskip(NEXT) | instid1(VALU_DEP_1)
	v_add_f32_e32 v0, v0, v46
	v_add_f32_e32 v0, v0, v51
	s_delay_alu instid0(VALU_DEP_1) | instskip(NEXT) | instid1(VALU_DEP_1)
	v_add_f32_e32 v0, v0, v59
	v_add_f32_e32 v8, v0, v60
	v_mul_f32_e32 v0, 0xbf65296c, v13
	s_delay_alu instid0(VALU_DEP_1) | instskip(NEXT) | instid1(VALU_DEP_1)
	v_fma_f32 v30, 0x3ee437d1, v10, -v0
	v_add_f32_e32 v30, v91, v30
	s_delay_alu instid0(VALU_DEP_1) | instskip(SKIP_1) | instid1(VALU_DEP_1)
	v_add_f32_e32 v30, v71, v30
	v_fma_f32 v71, 0xbf7ba420, v70, -v72
	v_dual_fmac_f32 v72, 0xbf7ba420, v70 :: v_dual_add_f32 v61, v71, v61
	v_fmac_f32_e32 v0, 0x3ee437d1, v10
	v_fma_f32 v64, 0xbe8c1d8e, v10, -v62
	s_delay_alu instid0(VALU_DEP_3) | instskip(NEXT) | instid1(VALU_DEP_3)
	v_dual_fmac_f32 v62, 0xbe8c1d8e, v10 :: v_dual_add_f32 v33, v72, v33
	v_add_f32_e32 v0, v91, v0
	s_delay_alu instid0(VALU_DEP_2) | instskip(NEXT) | instid1(VALU_DEP_2)
	v_add_f32_e32 v62, v91, v62
	v_add_f32_e32 v0, v73, v0
	v_mul_f32_e32 v73, 0x3f763a35, v68
	s_delay_alu instid0(VALU_DEP_1) | instskip(SKIP_1) | instid1(VALU_DEP_2)
	v_fma_f32 v71, 0xbe8c1d8e, v70, -v73
	v_fmac_f32_e32 v73, 0xbe8c1d8e, v70
	v_add_f32_e32 v65, v71, v65
	s_delay_alu instid0(VALU_DEP_2) | instskip(SKIP_3) | instid1(VALU_DEP_4)
	v_dual_add_f32 v63, v73, v63 :: v_dual_mul_f32 v66, 0xbf06c442, v13
	v_mul_f32_e32 v13, 0xbe3c28d5, v13
	v_sub_f32_e32 v71, v48, v52
	v_add_f32_e32 v64, v91, v64
	v_fma_f32 v67, 0xbf59a7d5, v10, -v66
	v_fmac_f32_e32 v38, v86, v69
	v_fma_f32 v69, 0xbf7ba420, v10, -v13
	v_fmac_f32_e32 v66, 0xbf59a7d5, v10
	v_fmac_f32_e32 v13, 0xbf7ba420, v10
	v_dual_add_f32 v67, v91, v67 :: v_dual_fmac_f32 v28, 0x3f3d2fb0, v10
	s_delay_alu instid0(VALU_DEP_4) | instskip(NEXT) | instid1(VALU_DEP_3)
	v_dual_add_f32 v10, v91, v69 :: v_dual_mul_f32 v69, 0xbf7ee86f, v68
	v_add_f32_e32 v13, v91, v13
	v_add_f32_e32 v66, v91, v66
	s_delay_alu instid0(VALU_DEP_4) | instskip(NEXT) | instid1(VALU_DEP_4)
	v_dual_add_f32 v28, v91, v28 :: v_dual_mul_f32 v75, 0xbf65296c, v71
	v_fma_f32 v74, 0x3dbcf732, v70, -v69
	v_fmac_f32_e32 v69, 0x3dbcf732, v70
	s_delay_alu instid0(VALU_DEP_1) | instskip(SKIP_1) | instid1(VALU_DEP_1)
	v_dual_add_f32 v29, v74, v29 :: v_dual_add_f32 v28, v69, v28
	v_mul_f32_e32 v69, 0x3f06c442, v68
	v_fma_f32 v74, 0xbf59a7d5, v70, -v69
	v_fmac_f32_e32 v69, 0xbf59a7d5, v70
	s_delay_alu instid0(VALU_DEP_1) | instskip(SKIP_1) | instid1(VALU_DEP_2)
	v_dual_add_f32 v62, v69, v62 :: v_dual_mul_f32 v69, 0x3f65296c, v68
	v_mul_f32_e32 v68, 0x3eb8f4ab, v68
	v_fma_f32 v72, 0x3ee437d1, v70, -v69
	s_delay_alu instid0(VALU_DEP_2) | instskip(NEXT) | instid1(VALU_DEP_2)
	v_fma_f32 v73, 0x3f6eb680, v70, -v68
	v_dual_fmac_f32 v68, 0x3f6eb680, v70 :: v_dual_add_f32 v67, v72, v67
	s_delay_alu instid0(VALU_DEP_1) | instskip(SKIP_3) | instid1(VALU_DEP_1)
	v_dual_add_f32 v10, v73, v10 :: v_dual_add_f32 v13, v68, v13
	v_mul_f32_e32 v68, 0x3e3c28d5, v71
	v_dual_mul_f32 v73, 0x3f763a35, v71 :: v_dual_add_f32 v64, v74, v64
	v_add_f32_e32 v74, v49, v51
	v_fma_f32 v72, 0xbf7ba420, v74, -v68
	v_fmac_f32_e32 v68, 0xbf7ba420, v74
	s_delay_alu instid0(VALU_DEP_2) | instskip(NEXT) | instid1(VALU_DEP_2)
	v_add_f32_e32 v30, v72, v30
	v_add_f32_e32 v0, v68, v0
	v_mul_f32_e32 v68, 0xbeb8f4ab, v71
	s_delay_alu instid0(VALU_DEP_1) | instskip(NEXT) | instid1(VALU_DEP_1)
	v_fma_f32 v72, 0x3f6eb680, v74, -v68
	v_dual_fmac_f32 v68, 0x3f6eb680, v74 :: v_dual_add_f32 v65, v72, v65
	v_fmac_f32_e32 v69, 0x3ee437d1, v70
	v_mul_f32_e32 v70, 0xbf4c4adb, v71
	s_delay_alu instid0(VALU_DEP_3) | instskip(NEXT) | instid1(VALU_DEP_3)
	v_dual_add_f32 v63, v68, v63 :: v_dual_sub_f32 v68, v43, v45
	v_add_f32_e32 v66, v69, v66
	v_fma_f32 v69, 0x3ee437d1, v74, -v75
	s_delay_alu instid0(VALU_DEP_1) | instskip(SKIP_1) | instid1(VALU_DEP_1)
	v_dual_mul_f32 v72, 0xbf7ee86f, v68 :: v_dual_add_f32 v27, v69, v27
	v_fma_f32 v69, 0xbf1a4643, v74, -v70
	v_dual_fmac_f32 v70, 0xbf1a4643, v74 :: v_dual_add_f32 v29, v69, v29
	s_delay_alu instid0(VALU_DEP_1) | instskip(SKIP_3) | instid1(VALU_DEP_3)
	v_add_f32_e32 v28, v70, v28
	v_fma_f32 v69, 0xbe8c1d8e, v74, -v73
	v_mul_f32_e32 v70, 0x3f2c7751, v71
	v_fmac_f32_e32 v73, 0xbe8c1d8e, v74
	v_add_f32_e32 v61, v69, v61
	s_delay_alu instid0(VALU_DEP_3) | instskip(NEXT) | instid1(VALU_DEP_3)
	v_fma_f32 v69, 0x3f3d2fb0, v74, -v70
	v_add_f32_e32 v33, v73, v33
	s_delay_alu instid0(VALU_DEP_2) | instskip(NEXT) | instid1(VALU_DEP_1)
	v_dual_mul_f32 v73, 0xbf7ee86f, v71 :: v_dual_add_f32 v64, v69, v64
	v_fma_f32 v69, 0x3dbcf732, v74, -v73
	v_fmac_f32_e32 v73, 0x3dbcf732, v74
	s_delay_alu instid0(VALU_DEP_2) | instskip(NEXT) | instid1(VALU_DEP_2)
	v_dual_add_f32 v67, v69, v67 :: v_dual_fmac_f32 v70, 0x3f3d2fb0, v74
	v_add_f32_e32 v66, v73, v66
	s_delay_alu instid0(VALU_DEP_2) | instskip(SKIP_1) | instid1(VALU_DEP_1)
	v_add_f32_e32 v62, v70, v62
	v_dual_mul_f32 v70, 0xbf06c442, v71 :: v_dual_add_f32 v71, v44, v46
	v_fma_f32 v73, 0x3dbcf732, v71, -v72
	v_fmac_f32_e32 v72, 0x3dbcf732, v71
	s_delay_alu instid0(VALU_DEP_2) | instskip(SKIP_4) | instid1(VALU_DEP_3)
	v_add_f32_e32 v27, v73, v27
	v_mul_f32_e32 v73, 0x3eb8f4ab, v68
	v_fma_f32 v69, 0xbf59a7d5, v74, -v70
	v_fmac_f32_e32 v75, 0x3ee437d1, v74
	v_fmac_f32_e32 v70, 0xbf59a7d5, v74
	v_dual_add_f32 v10, v69, v10 :: v_dual_mul_f32 v69, 0xbe3c28d5, v68
	s_delay_alu instid0(VALU_DEP_2) | instskip(SKIP_1) | instid1(VALU_DEP_3)
	v_dual_add_f32 v14, v75, v14 :: v_dual_add_f32 v13, v70, v13
	v_mul_f32_e32 v70, 0x3f763a35, v68
	v_fma_f32 v74, 0xbf7ba420, v71, -v69
	v_fmac_f32_e32 v69, 0xbf7ba420, v71
	s_delay_alu instid0(VALU_DEP_1) | instskip(SKIP_1) | instid1(VALU_DEP_1)
	v_dual_add_f32 v29, v74, v29 :: v_dual_add_f32 v28, v69, v28
	v_mul_f32_e32 v69, 0xbf65296c, v68
	v_fma_f32 v74, 0x3ee437d1, v71, -v69
	v_fmac_f32_e32 v69, 0x3ee437d1, v71
	s_delay_alu instid0(VALU_DEP_1) | instskip(SKIP_3) | instid1(VALU_DEP_2)
	v_dual_add_f32 v62, v69, v62 :: v_dual_mul_f32 v69, 0x3f4c4adb, v68
	v_add_f32_e32 v14, v72, v14
	v_fma_f32 v72, 0xbe8c1d8e, v71, -v70
	v_fmac_f32_e32 v70, 0xbe8c1d8e, v71
	v_add_f32_e32 v30, v72, v30
	v_fma_f32 v72, 0x3f6eb680, v71, -v73
	s_delay_alu instid0(VALU_DEP_3) | instskip(SKIP_2) | instid1(VALU_DEP_4)
	v_add_f32_e32 v0, v70, v0
	v_mul_f32_e32 v70, 0xbf06c442, v68
	v_fmac_f32_e32 v73, 0x3f6eb680, v71
	v_dual_mul_f32 v68, 0x3f2c7751, v68 :: v_dual_add_f32 v61, v72, v61
	s_delay_alu instid0(VALU_DEP_3) | instskip(NEXT) | instid1(VALU_DEP_3)
	v_fma_f32 v72, 0xbf59a7d5, v71, -v70
	v_dual_fmac_f32 v70, 0xbf59a7d5, v71 :: v_dual_add_f32 v33, v73, v33
	s_delay_alu instid0(VALU_DEP_3) | instskip(NEXT) | instid1(VALU_DEP_3)
	v_fma_f32 v73, 0x3f3d2fb0, v71, -v68
	v_dual_fmac_f32 v68, 0x3f3d2fb0, v71 :: v_dual_add_f32 v65, v72, v65
	s_delay_alu instid0(VALU_DEP_3) | instskip(SKIP_1) | instid1(VALU_DEP_4)
	v_dual_add_f32 v63, v70, v63 :: v_dual_sub_f32 v70, v36, v38
	v_fma_f32 v72, 0xbf1a4643, v71, -v69
	v_dual_fmac_f32 v69, 0xbf1a4643, v71 :: v_dual_add_f32 v10, v73, v10
	s_delay_alu instid0(VALU_DEP_4) | instskip(NEXT) | instid1(VALU_DEP_4)
	v_add_f32_e32 v13, v68, v13
	v_mul_f32_e32 v75, 0xbf763a35, v70
	v_dual_mul_f32 v73, 0xbf65296c, v70 :: v_dual_add_f32 v64, v74, v64
	v_add_f32_e32 v74, v37, v39
	v_add_f32_e32 v66, v69, v66
	v_mul_f32_e32 v71, 0x3f06c442, v70
	v_add_f32_e32 v67, v72, v67
	s_delay_alu instid0(VALU_DEP_4) | instskip(NEXT) | instid1(VALU_DEP_1)
	v_fma_f32 v69, 0xbe8c1d8e, v74, -v75
	v_add_f32_e32 v27, v69, v27
	s_delay_alu instid0(VALU_DEP_4) | instskip(NEXT) | instid1(VALU_DEP_1)
	v_fma_f32 v69, 0xbf59a7d5, v74, -v71
	v_add_f32_e32 v29, v69, v29
	v_fma_f32 v69, 0x3ee437d1, v74, -v73
	v_fmac_f32_e32 v73, 0x3ee437d1, v74
	s_delay_alu instid0(VALU_DEP_2) | instskip(NEXT) | instid1(VALU_DEP_2)
	v_add_f32_e32 v61, v69, v61
	v_add_f32_e32 v33, v73, v33
	v_mul_f32_e32 v73, 0xbeb8f4ab, v70
	v_fmac_f32_e32 v71, 0xbf59a7d5, v74
	s_delay_alu instid0(VALU_DEP_1) | instskip(SKIP_1) | instid1(VALU_DEP_1)
	v_dual_fmac_f32 v75, 0xbe8c1d8e, v74 :: v_dual_add_f32 v28, v71, v28
	v_mul_f32_e32 v71, 0xbe3c28d5, v70
	v_fma_f32 v69, 0xbf7ba420, v74, -v71
	s_delay_alu instid0(VALU_DEP_1) | instskip(SKIP_2) | instid1(VALU_DEP_2)
	v_dual_fmac_f32 v71, 0xbf7ba420, v74 :: v_dual_add_f32 v64, v69, v64
	v_fma_f32 v69, 0x3f6eb680, v74, -v73
	v_fmac_f32_e32 v73, 0x3f6eb680, v74
	v_dual_add_f32 v67, v69, v67 :: v_dual_mul_f32 v68, 0x3f2c7751, v70
	s_delay_alu instid0(VALU_DEP_1) | instskip(SKIP_1) | instid1(VALU_DEP_2)
	v_fma_f32 v72, 0x3f3d2fb0, v74, -v68
	v_fmac_f32_e32 v68, 0x3f3d2fb0, v74
	v_add_f32_e32 v30, v72, v30
	s_delay_alu instid0(VALU_DEP_2) | instskip(SKIP_2) | instid1(VALU_DEP_2)
	v_add_f32_e32 v0, v68, v0
	v_mul_f32_e32 v68, 0x3f7ee86f, v70
	v_mul_f32_e32 v70, 0xbf4c4adb, v70
	v_fma_f32 v72, 0x3dbcf732, v74, -v68
	v_fmac_f32_e32 v68, 0x3dbcf732, v74
	s_delay_alu instid0(VALU_DEP_3) | instskip(NEXT) | instid1(VALU_DEP_3)
	v_fma_f32 v69, 0xbf1a4643, v74, -v70
	v_dual_fmac_f32 v70, 0xbf1a4643, v74 :: v_dual_add_f32 v65, v72, v65
	s_delay_alu instid0(VALU_DEP_3) | instskip(NEXT) | instid1(VALU_DEP_2)
	v_dual_add_f32 v63, v68, v63 :: v_dual_sub_f32 v68, v23, v34
	v_dual_add_f32 v10, v69, v10 :: v_dual_add_f32 v13, v70, v13
	v_dual_add_f32 v62, v71, v62 :: v_dual_add_f32 v71, v24, v35
	s_delay_alu instid0(VALU_DEP_3) | instskip(SKIP_2) | instid1(VALU_DEP_3)
	v_mul_f32_e32 v69, 0x3f763a35, v68
	v_mul_f32_e32 v72, 0xbf4c4adb, v68
	;; [unrolled: 1-line block ×3, first 2 shown]
	v_fma_f32 v74, 0xbe8c1d8e, v71, -v69
	v_fmac_f32_e32 v69, 0xbe8c1d8e, v71
	s_delay_alu instid0(VALU_DEP_1) | instskip(SKIP_1) | instid1(VALU_DEP_1)
	v_dual_add_f32 v29, v74, v29 :: v_dual_add_f32 v28, v69, v28
	v_mul_f32_e32 v69, 0x3f7ee86f, v68
	v_fma_f32 v74, 0x3dbcf732, v71, -v69
	v_dual_fmac_f32 v69, 0x3dbcf732, v71 :: v_dual_add_f32 v66, v73, v66
	v_fma_f32 v73, 0xbf1a4643, v71, -v72
	v_fmac_f32_e32 v72, 0xbf1a4643, v71
	s_delay_alu instid0(VALU_DEP_3) | instskip(NEXT) | instid1(VALU_DEP_3)
	v_dual_add_f32 v62, v69, v62 :: v_dual_mul_f32 v69, 0xbe3c28d5, v68
	v_dual_add_f32 v14, v75, v14 :: v_dual_add_f32 v27, v73, v27
	s_delay_alu instid0(VALU_DEP_1) | instskip(SKIP_2) | instid1(VALU_DEP_2)
	v_dual_mul_f32 v73, 0xbf06c442, v68 :: v_dual_add_f32 v14, v72, v14
	v_fma_f32 v72, 0x3f6eb680, v71, -v70
	v_fmac_f32_e32 v70, 0x3f6eb680, v71
	v_add_f32_e32 v30, v72, v30
	s_delay_alu instid0(VALU_DEP_4) | instskip(NEXT) | instid1(VALU_DEP_3)
	v_fma_f32 v72, 0xbf59a7d5, v71, -v73
	v_add_f32_e32 v0, v70, v0
	v_mul_f32_e32 v70, 0xbf2c7751, v68
	v_fmac_f32_e32 v73, 0xbf59a7d5, v71
	s_delay_alu instid0(VALU_DEP_4) | instskip(NEXT) | instid1(VALU_DEP_3)
	v_dual_mul_f32 v68, 0x3f65296c, v68 :: v_dual_add_f32 v61, v72, v61
	v_fma_f32 v72, 0x3f3d2fb0, v71, -v70
	s_delay_alu instid0(VALU_DEP_3) | instskip(NEXT) | instid1(VALU_DEP_3)
	v_dual_fmac_f32 v70, 0x3f3d2fb0, v71 :: v_dual_add_f32 v33, v73, v33
	v_fma_f32 v73, 0x3ee437d1, v71, -v68
	s_delay_alu instid0(VALU_DEP_3) | instskip(NEXT) | instid1(VALU_DEP_3)
	v_dual_fmac_f32 v68, 0x3ee437d1, v71 :: v_dual_add_f32 v65, v72, v65
	v_dual_add_f32 v63, v70, v63 :: v_dual_sub_f32 v70, v19, v21
	v_fma_f32 v72, 0xbf7ba420, v71, -v69
	s_delay_alu instid0(VALU_DEP_4) | instskip(NEXT) | instid1(VALU_DEP_4)
	v_dual_fmac_f32 v69, 0xbf7ba420, v71 :: v_dual_add_f32 v10, v73, v10
	v_add_f32_e32 v13, v68, v13
	s_delay_alu instid0(VALU_DEP_4) | instskip(SKIP_4) | instid1(VALU_DEP_3)
	v_mul_f32_e32 v75, 0xbf06c442, v70
	v_dual_mul_f32 v71, 0x3f65296c, v70 :: v_dual_add_f32 v64, v74, v64
	v_add_f32_e32 v74, v20, v22
	v_add_f32_e32 v66, v69, v66
	v_dual_mul_f32 v68, 0xbf7ee86f, v70 :: v_dual_add_f32 v67, v72, v67
	v_fma_f32 v69, 0xbf59a7d5, v74, -v75
	v_fmac_f32_e32 v75, 0xbf59a7d5, v74
	s_delay_alu instid0(VALU_DEP_3) | instskip(NEXT) | instid1(VALU_DEP_3)
	v_fma_f32 v72, 0x3dbcf732, v74, -v68
	v_dual_fmac_f32 v68, 0x3dbcf732, v74 :: v_dual_add_f32 v27, v69, v27
	v_fma_f32 v69, 0x3ee437d1, v74, -v71
	v_fmac_f32_e32 v71, 0x3ee437d1, v74
	s_delay_alu instid0(VALU_DEP_3) | instskip(NEXT) | instid1(VALU_DEP_3)
	v_dual_mul_f32 v73, 0x3f4c4adb, v70 :: v_dual_add_f32 v0, v68, v0
	v_dual_mul_f32 v68, 0xbe3c28d5, v70 :: v_dual_add_f32 v29, v69, v29
	s_delay_alu instid0(VALU_DEP_3) | instskip(NEXT) | instid1(VALU_DEP_3)
	v_add_f32_e32 v28, v71, v28
	v_fma_f32 v69, 0xbf1a4643, v74, -v73
	v_mul_f32_e32 v71, 0xbeb8f4ab, v70
	v_fmac_f32_e32 v73, 0xbf1a4643, v74
	v_add_f32_e32 v30, v72, v30
	v_fma_f32 v72, 0xbf7ba420, v74, -v68
	v_add_f32_e32 v61, v69, v61
	v_fma_f32 v69, 0x3f6eb680, v74, -v71
	v_add_f32_e32 v33, v73, v33
	v_mul_f32_e32 v73, 0x3f2c7751, v70
	v_fmac_f32_e32 v68, 0xbf7ba420, v74
	v_mul_f32_e32 v70, 0xbf763a35, v70
	v_dual_add_f32 v64, v69, v64 :: v_dual_fmac_f32 v71, 0x3f6eb680, v74
	s_delay_alu instid0(VALU_DEP_4) | instskip(NEXT) | instid1(VALU_DEP_4)
	v_fma_f32 v69, 0x3f3d2fb0, v74, -v73
	v_dual_add_f32 v63, v68, v63 :: v_dual_sub_f32 v68, v15, v16
	s_delay_alu instid0(VALU_DEP_3) | instskip(NEXT) | instid1(VALU_DEP_3)
	v_dual_add_f32 v65, v72, v65 :: v_dual_add_f32 v62, v71, v62
	v_add_f32_e32 v67, v69, v67
	v_fma_f32 v69, 0xbe8c1d8e, v74, -v70
	v_fmac_f32_e32 v73, 0x3f3d2fb0, v74
	v_dual_add_f32 v71, v17, v18 :: v_dual_mul_f32 v72, 0xbe3c28d5, v68
	v_fmac_f32_e32 v70, 0xbe8c1d8e, v74
	s_delay_alu instid0(VALU_DEP_4) | instskip(NEXT) | instid1(VALU_DEP_4)
	v_dual_add_f32 v10, v69, v10 :: v_dual_mul_f32 v69, 0x3eb8f4ab, v68
	v_add_f32_e32 v66, v73, v66
	s_delay_alu instid0(VALU_DEP_4) | instskip(NEXT) | instid1(VALU_DEP_4)
	v_fma_f32 v73, 0xbf7ba420, v71, -v72
	v_dual_fmac_f32 v72, 0xbf7ba420, v71 :: v_dual_add_f32 v13, v70, v13
	v_mul_f32_e32 v70, 0xbf06c442, v68
	v_fma_f32 v74, 0x3f6eb680, v71, -v69
	v_dual_fmac_f32 v69, 0x3f6eb680, v71 :: v_dual_add_f32 v14, v75, v14
	v_add_f32_e32 v73, v73, v27
	s_delay_alu instid0(VALU_DEP_2) | instskip(SKIP_4) | instid1(VALU_DEP_4)
	v_dual_add_f32 v28, v69, v28 :: v_dual_add_f32 v27, v72, v14
	v_fma_f32 v14, 0xbf59a7d5, v71, -v70
	v_add_f32_e32 v72, v74, v29
	v_mul_f32_e32 v74, 0x3f2c7751, v68
	v_fmac_f32_e32 v70, 0xbf59a7d5, v71
	v_dual_mul_f32 v69, 0xbf4c4adb, v68 :: v_dual_add_f32 v14, v14, v30
	s_delay_alu instid0(VALU_DEP_3) | instskip(NEXT) | instid1(VALU_DEP_3)
	v_fma_f32 v30, 0x3f3d2fb0, v71, -v74
	v_dual_add_f32 v29, v70, v0 :: v_dual_fmac_f32 v74, 0x3f3d2fb0, v71
	v_mul_f32_e32 v70, 0x3f65296c, v68
	s_delay_alu instid0(VALU_DEP_4)
	v_fma_f32 v0, 0xbf1a4643, v71, -v69
	v_fmac_f32_e32 v69, 0xbf1a4643, v71
	v_add_f32_e32 v75, v30, v61
	v_add_f32_e32 v30, v74, v33
	v_fma_f32 v33, 0x3ee437d1, v71, -v70
	v_mul_f32_e32 v61, 0xbf763a35, v68
	v_add_f32_e32 v64, v0, v64
	v_add_f32_e32 v0, v69, v62
	s_delay_alu instid0(VALU_DEP_4) | instskip(NEXT) | instid1(VALU_DEP_4)
	v_dual_mul_f32 v62, 0x3f7ee86f, v68 :: v_dual_add_f32 v33, v33, v65
	v_fma_f32 v65, 0xbe8c1d8e, v71, -v61
	v_fmac_f32_e32 v61, 0xbe8c1d8e, v71
	v_fmac_f32_e32 v70, 0x3ee437d1, v71
	s_delay_alu instid0(VALU_DEP_4)
	v_fma_f32 v68, 0x3dbcf732, v71, -v62
	v_fmac_f32_e32 v62, 0x3dbcf732, v71
	v_add_f32_e32 v65, v65, v67
	v_add_f32_e32 v66, v61, v66
	v_add3_u32 v61, 0, v6, v7
	v_dual_add_f32 v10, v68, v10 :: v_dual_add_nc_u32 v7, 0x800, v32
	v_add_f32_e32 v13, v62, v13
	v_add_f32_e32 v63, v70, v63
	ds_store_2addr_b32 v61, v8, v73 offset1:17
	ds_store_2addr_b32 v61, v72, v14 offset0:34 offset1:51
	ds_store_2addr_b32 v61, v75, v64 offset0:68 offset1:85
	;; [unrolled: 1-line block ×7, first 2 shown]
	ds_store_b32 v61, v27 offset:1088
	global_wb scope:SCOPE_SE
	s_wait_dscnt 0x0
	s_barrier_signal -1
	s_barrier_wait -1
	global_inv scope:SCOPE_SE
	ds_load_2addr_b32 v[5:6], v5 offset0:33 offset1:135
	ds_load_2addr_b32 v[7:8], v7 offset0:66 offset1:168
	;; [unrolled: 1-line block ×5, first 2 shown]
	ds_load_b32 v32, v32
	ds_load_b32 v33, v26
	s_and_saveexec_b32 s1, s0
	s_cbranch_execz .LBB0_15
; %bb.14:
	ds_load_b32 v0, v25
	ds_load_b32 v30, v50 offset:1972
	ds_load_b32 v29, v50 offset:3128
	;; [unrolled: 1-line block ×5, first 2 shown]
.LBB0_15:
	s_wait_alu 0xfffe
	s_or_b32 exec_lo, exec_lo, s1
	v_dual_add_f32 v62, v47, v57 :: v_dual_add_f32 v57, v57, v55
	v_sub_f32_e32 v58, v58, v60
	v_add_f32_e32 v60, v53, v56
	v_sub_f32_e32 v49, v49, v51
	s_delay_alu instid0(VALU_DEP_4)
	v_add_f32_e32 v53, v62, v53
	v_sub_f32_e32 v37, v37, v39
	global_wb scope:SCOPE_SE
	s_wait_dscnt 0x0
	s_barrier_signal -1
	s_barrier_wait -1
	v_add_f32_e32 v53, v53, v48
	global_inv scope:SCOPE_SE
	v_add_f32_e32 v48, v48, v52
	v_sub_f32_e32 v44, v44, v46
	v_sub_f32_e32 v24, v24, v35
	v_dual_add_f32 v53, v53, v43 :: v_dual_mul_f32 v66, 0xbf4c4adb, v58
	v_mul_f32_e32 v62, 0xbf2c7751, v58
	v_dual_sub_f32 v54, v54, v59 :: v_dual_mul_f32 v59, 0xbeb8f4ab, v58
	s_delay_alu instid0(VALU_DEP_3) | instskip(SKIP_1) | instid1(VALU_DEP_4)
	v_dual_add_f32 v53, v53, v36 :: v_dual_mul_f32 v64, 0xbf7ee86f, v58
	v_mul_f32_e32 v67, 0xbf06c442, v58
	v_fmamk_f32 v74, v57, 0x3f3d2fb0, v62
	v_fma_f32 v62, 0x3f3d2fb0, v57, -v62
	s_delay_alu instid0(VALU_DEP_4)
	v_add_f32_e32 v53, v53, v23
	v_fmamk_f32 v76, v57, 0x3dbcf732, v64
	v_mul_f32_e32 v63, 0xbf65296c, v58
	v_fma_f32 v64, 0x3dbcf732, v57, -v64
	v_mul_f32_e32 v65, 0xbf763a35, v58
	v_dual_mul_f32 v58, 0xbe3c28d5, v58 :: v_dual_add_f32 v53, v53, v19
	v_mul_f32_e32 v68, 0xbf2c7751, v54
	v_dual_fmamk_f32 v73, v57, 0x3f6eb680, v59 :: v_dual_add_f32 v74, v47, v74
	v_fma_f32 v59, 0x3f6eb680, v57, -v59
	s_delay_alu instid0(VALU_DEP_4) | instskip(SKIP_2) | instid1(VALU_DEP_3)
	v_dual_add_f32 v53, v53, v15 :: v_dual_mul_f32 v70, 0xbf4c4adb, v54
	v_add_f32_e32 v62, v47, v62
	v_dual_add_f32 v76, v47, v76 :: v_dual_fmamk_f32 v75, v57, 0x3ee437d1, v63
	v_dual_add_f32 v53, v53, v16 :: v_dual_mul_f32 v72, 0x3f06c442, v54
	v_fmamk_f32 v80, v57, 0xbf7ba420, v58
	v_fma_f32 v63, 0x3ee437d1, v57, -v63
	s_delay_alu instid0(VALU_DEP_4) | instskip(NEXT) | instid1(VALU_DEP_4)
	v_add_f32_e32 v75, v47, v75
	v_add_f32_e32 v53, v53, v21
	v_dual_fmamk_f32 v78, v57, 0xbf1a4643, v66 :: v_dual_add_f32 v59, v47, v59
	v_fma_f32 v66, 0xbf1a4643, v57, -v66
	v_dual_add_f32 v64, v47, v64 :: v_dual_fmamk_f32 v77, v57, 0xbe8c1d8e, v65
	s_delay_alu instid0(VALU_DEP_3)
	v_add_f32_e32 v78, v47, v78
	v_fma_f32 v65, 0xbe8c1d8e, v57, -v65
	v_dual_add_f32 v53, v53, v34 :: v_dual_add_f32 v80, v47, v80
	v_dual_fmamk_f32 v79, v57, 0xbf59a7d5, v67 :: v_dual_add_f32 v66, v47, v66
	v_fma_f32 v67, 0xbf59a7d5, v57, -v67
	v_fma_f32 v57, 0xbf7ba420, v57, -v58
	v_fmamk_f32 v58, v60, 0x3f3d2fb0, v68
	v_dual_fmamk_f32 v82, v60, 0xbf1a4643, v70 :: v_dual_add_f32 v53, v53, v38
	v_fma_f32 v68, 0x3f3d2fb0, v60, -v68
	v_mul_f32_e32 v69, 0xbf7ee86f, v54
	v_mul_f32_e32 v71, 0xbe3c28d5, v54
	v_add_f32_e32 v73, v47, v73
	v_add_f32_e32 v53, v53, v45
	;; [unrolled: 1-line block ×5, first 2 shown]
	v_fma_f32 v70, 0xbf1a4643, v60, -v70
	v_dual_add_f32 v53, v53, v52 :: v_dual_mul_f32 v52, 0xbf65296c, v49
	v_add_f32_e32 v43, v43, v45
	v_dual_mul_f32 v45, 0xbf7ee86f, v44 :: v_dual_add_f32 v36, v36, v38
	s_delay_alu instid0(VALU_DEP_3) | instskip(SKIP_3) | instid1(VALU_DEP_4)
	v_dual_add_f32 v53, v53, v56 :: v_dual_add_f32 v56, v68, v59
	v_fmamk_f32 v81, v60, 0x3dbcf732, v69
	v_fma_f32 v69, 0x3dbcf732, v60, -v69
	v_add_f32_e32 v63, v47, v63
	v_dual_add_f32 v53, v53, v55 :: v_dual_mul_f32 v38, 0xbf763a35, v37
	v_dual_add_f32 v23, v23, v34 :: v_dual_mul_f32 v34, 0xbf4c4adb, v24
	s_delay_alu instid0(VALU_DEP_4)
	v_dual_add_f32 v59, v69, v62 :: v_dual_add_f32 v62, v82, v75
	v_fma_f32 v68, 0xbf7ba420, v60, -v71
	v_mul_f32_e32 v69, 0x3f763a35, v54
	v_add_f32_e32 v65, v47, v65
	v_fmamk_f32 v55, v60, 0xbf7ba420, v71
	v_fma_f32 v71, 0xbf59a7d5, v60, -v72
	v_add_f32_e32 v64, v68, v64
	v_fmamk_f32 v68, v60, 0xbe8c1d8e, v69
	v_fma_f32 v69, 0xbe8c1d8e, v60, -v69
	v_add_f32_e32 v47, v47, v57
	v_add_f32_e32 v57, v58, v73
	v_add_f32_e32 v65, v71, v65
	v_mul_f32_e32 v71, 0x3f65296c, v54
	v_mul_f32_e32 v54, 0x3eb8f4ab, v54
	v_add_f32_e32 v66, v69, v66
	v_add_f32_e32 v58, v81, v74
	;; [unrolled: 1-line block ×3, first 2 shown]
	v_fmamk_f32 v51, v60, 0x3ee437d1, v71
	v_fma_f32 v69, 0x3ee437d1, v60, -v71
	v_fmamk_f32 v71, v60, 0x3f6eb680, v54
	v_fma_f32 v54, 0x3f6eb680, v60, -v54
	v_add_f32_e32 v15, v15, v16
	v_sub_f32_e32 v17, v17, v18
	v_dual_sub_f32 v20, v20, v22 :: v_dual_add_f32 v19, v19, v21
	s_delay_alu instid0(VALU_DEP_4) | instskip(SKIP_4) | instid1(VALU_DEP_4)
	v_dual_add_f32 v47, v54, v47 :: v_dual_mul_f32 v54, 0x3e3c28d5, v49
	v_dual_add_f32 v63, v70, v63 :: v_dual_fmamk_f32 v70, v60, 0xbf59a7d5, v72
	v_dual_add_f32 v60, v69, v67 :: v_dual_fmamk_f32 v69, v48, 0x3ee437d1, v52
	v_fma_f32 v52, 0x3ee437d1, v48, -v52
	v_dual_mul_f32 v72, 0x3f763a35, v49 :: v_dual_add_f32 v67, v71, v80
	v_add_f32_e32 v70, v70, v77
	s_delay_alu instid0(VALU_DEP_3) | instskip(SKIP_3) | instid1(VALU_DEP_3)
	v_dual_add_f32 v57, v69, v57 :: v_dual_add_f32 v52, v52, v56
	v_fmamk_f32 v56, v48, 0xbf7ba420, v54
	v_fma_f32 v54, 0xbf7ba420, v48, -v54
	v_mul_f32_e32 v16, 0xbe3c28d5, v17
	v_add_f32_e32 v56, v56, v62
	v_fmamk_f32 v62, v48, 0xbe8c1d8e, v72
	s_delay_alu instid0(VALU_DEP_4) | instskip(SKIP_1) | instid1(VALU_DEP_2)
	v_dual_mul_f32 v71, 0xbf4c4adb, v49 :: v_dual_add_f32 v54, v54, v63
	v_mul_f32_e32 v63, 0xbeb8f4ab, v49
	v_fmamk_f32 v69, v48, 0xbf1a4643, v71
	v_fma_f32 v71, 0xbf1a4643, v48, -v71
	s_delay_alu instid0(VALU_DEP_2) | instskip(NEXT) | instid1(VALU_DEP_2)
	v_dual_add_f32 v55, v55, v76 :: v_dual_add_f32 v58, v69, v58
	v_add_f32_e32 v59, v71, v59
	v_fma_f32 v71, 0xbe8c1d8e, v48, -v72
	s_delay_alu instid0(VALU_DEP_3) | instskip(NEXT) | instid1(VALU_DEP_2)
	v_dual_mul_f32 v72, 0xbf7ee86f, v49 :: v_dual_add_f32 v55, v62, v55
	v_add_f32_e32 v64, v71, v64
	s_delay_alu instid0(VALU_DEP_2) | instskip(SKIP_2) | instid1(VALU_DEP_3)
	v_fma_f32 v46, 0x3dbcf732, v48, -v72
	v_fmamk_f32 v71, v48, 0x3f6eb680, v63
	v_fma_f32 v63, 0x3f6eb680, v48, -v63
	v_add_f32_e32 v46, v46, v60
	v_mul_f32_e32 v60, 0xbe3c28d5, v44
	v_mul_f32_e32 v69, 0x3f2c7751, v49
	v_add_f32_e32 v51, v51, v79
	v_mul_f32_e32 v49, 0xbf06c442, v49
	s_delay_alu instid0(VALU_DEP_3) | instskip(SKIP_1) | instid1(VALU_DEP_3)
	v_dual_add_f32 v63, v63, v66 :: v_dual_fmamk_f32 v62, v48, 0x3f3d2fb0, v69
	v_fma_f32 v69, 0x3f3d2fb0, v48, -v69
	v_fmamk_f32 v66, v48, 0xbf59a7d5, v49
	s_delay_alu instid0(VALU_DEP_2) | instskip(SKIP_2) | instid1(VALU_DEP_1)
	v_dual_add_f32 v62, v62, v70 :: v_dual_add_f32 v65, v69, v65
	v_fmamk_f32 v69, v48, 0x3dbcf732, v72
	v_fma_f32 v48, 0xbf59a7d5, v48, -v49
	v_dual_add_f32 v47, v48, v47 :: v_dual_mul_f32 v48, 0x3f763a35, v44
	v_dual_add_f32 v49, v66, v67 :: v_dual_fmamk_f32 v66, v43, 0x3dbcf732, v45
	v_fma_f32 v45, 0x3dbcf732, v43, -v45
	v_fmamk_f32 v67, v43, 0xbf7ba420, v60
	s_delay_alu instid0(VALU_DEP_3) | instskip(NEXT) | instid1(VALU_DEP_3)
	v_add_f32_e32 v57, v66, v57
	v_add_f32_e32 v45, v45, v52
	v_fma_f32 v52, 0xbf7ba420, v43, -v60
	v_fmamk_f32 v60, v43, 0xbe8c1d8e, v48
	v_mul_f32_e32 v66, 0x3eb8f4ab, v44
	v_fma_f32 v48, 0xbe8c1d8e, v43, -v48
	v_add_f32_e32 v58, v67, v58
	v_add_f32_e32 v52, v52, v59
	;; [unrolled: 1-line block ×3, first 2 shown]
	v_fmamk_f32 v60, v43, 0x3f6eb680, v66
	v_add_f32_e32 v48, v48, v54
	v_fma_f32 v54, 0x3f6eb680, v43, -v66
	v_mul_f32_e32 v66, 0xbf06c442, v44
	v_add_f32_e32 v68, v71, v68
	v_mul_f32_e32 v59, 0xbf65296c, v44
	s_delay_alu instid0(VALU_DEP_4) | instskip(NEXT) | instid1(VALU_DEP_4)
	v_dual_add_f32 v55, v60, v55 :: v_dual_add_f32 v54, v54, v64
	v_dual_add_f32 v51, v69, v51 :: v_dual_fmamk_f32 v60, v43, 0xbf59a7d5, v66
	s_delay_alu instid0(VALU_DEP_1) | instskip(SKIP_2) | instid1(VALU_DEP_2)
	v_dual_add_f32 v60, v60, v68 :: v_dual_fmamk_f32 v67, v43, 0x3ee437d1, v59
	v_fma_f32 v59, 0x3ee437d1, v43, -v59
	v_fma_f32 v64, 0xbf59a7d5, v43, -v66
	v_add_f32_e32 v59, v59, v65
	v_mul_f32_e32 v65, 0x3f4c4adb, v44
	s_delay_alu instid0(VALU_DEP_3) | instskip(NEXT) | instid1(VALU_DEP_2)
	v_dual_mul_f32 v44, 0x3f2c7751, v44 :: v_dual_add_f32 v63, v64, v63
	v_fmamk_f32 v39, v43, 0xbf1a4643, v65
	v_fma_f32 v64, 0xbf1a4643, v43, -v65
	s_delay_alu instid0(VALU_DEP_3) | instskip(SKIP_1) | instid1(VALU_DEP_3)
	v_fmamk_f32 v65, v43, 0x3f3d2fb0, v44
	v_fma_f32 v43, 0x3f3d2fb0, v43, -v44
	v_dual_add_f32 v39, v39, v51 :: v_dual_add_f32 v44, v64, v46
	s_delay_alu instid0(VALU_DEP_3) | instskip(SKIP_3) | instid1(VALU_DEP_4)
	v_dual_add_f32 v46, v65, v49 :: v_dual_fmamk_f32 v49, v36, 0xbe8c1d8e, v38
	v_mul_f32_e32 v64, 0xbf65296c, v37
	v_mul_f32_e32 v51, 0x3f06c442, v37
	v_fma_f32 v38, 0xbe8c1d8e, v36, -v38
	v_dual_add_f32 v62, v67, v62 :: v_dual_add_f32 v49, v49, v57
	s_delay_alu instid0(VALU_DEP_2) | instskip(NEXT) | instid1(VALU_DEP_1)
	v_dual_fmamk_f32 v57, v36, 0xbf59a7d5, v51 :: v_dual_add_f32 v38, v38, v45
	v_add_f32_e32 v57, v57, v58
	v_fma_f32 v58, 0x3ee437d1, v36, -v64
	s_delay_alu instid0(VALU_DEP_1) | instskip(SKIP_1) | instid1(VALU_DEP_1)
	v_dual_add_f32 v54, v58, v54 :: v_dual_add_f32 v43, v43, v47
	v_mul_f32_e32 v47, 0x3f2c7751, v37
	v_fmamk_f32 v45, v36, 0x3f3d2fb0, v47
	v_fma_f32 v47, 0x3f3d2fb0, v36, -v47
	s_delay_alu instid0(VALU_DEP_2) | instskip(NEXT) | instid1(VALU_DEP_2)
	v_add_f32_e32 v45, v45, v56
	v_dual_add_f32 v47, v47, v48 :: v_dual_mul_f32 v48, 0x3f7ee86f, v37
	v_mul_f32_e32 v56, 0xbe3c28d5, v37
	s_delay_alu instid0(VALU_DEP_2) | instskip(SKIP_1) | instid1(VALU_DEP_2)
	v_fmamk_f32 v58, v36, 0x3dbcf732, v48
	v_fma_f32 v48, 0x3dbcf732, v36, -v48
	v_add_f32_e32 v58, v58, v60
	s_delay_alu instid0(VALU_DEP_2) | instskip(SKIP_1) | instid1(VALU_DEP_1)
	v_add_f32_e32 v48, v48, v63
	v_fma_f32 v51, 0xbf59a7d5, v36, -v51
	v_dual_add_f32 v51, v51, v52 :: v_dual_fmamk_f32 v52, v36, 0x3ee437d1, v64
	v_mul_f32_e32 v64, 0xbeb8f4ab, v37
	s_delay_alu instid0(VALU_DEP_2) | instskip(SKIP_2) | instid1(VALU_DEP_4)
	v_dual_mul_f32 v37, 0xbf4c4adb, v37 :: v_dual_add_f32 v52, v52, v55
	v_fmamk_f32 v55, v36, 0xbf7ba420, v56
	v_fma_f32 v56, 0xbf7ba420, v36, -v56
	v_fma_f32 v35, 0x3f6eb680, v36, -v64
	s_delay_alu instid0(VALU_DEP_2) | instskip(SKIP_1) | instid1(VALU_DEP_3)
	v_add_f32_e32 v56, v56, v59
	v_fmamk_f32 v59, v36, 0x3f6eb680, v64
	v_add_f32_e32 v35, v35, v44
	s_delay_alu instid0(VALU_DEP_2) | instskip(SKIP_2) | instid1(VALU_DEP_2)
	v_dual_mul_f32 v44, 0x3f763a35, v24 :: v_dual_add_f32 v39, v59, v39
	v_fmamk_f32 v59, v36, 0xbf1a4643, v37
	v_fma_f32 v36, 0xbf1a4643, v36, -v37
	v_add_f32_e32 v37, v59, v46
	v_fmamk_f32 v46, v23, 0xbf1a4643, v34
	v_fma_f32 v34, 0xbf1a4643, v23, -v34
	s_delay_alu instid0(VALU_DEP_4) | instskip(NEXT) | instid1(VALU_DEP_3)
	v_dual_add_f32 v36, v36, v43 :: v_dual_mul_f32 v43, 0xbeb8f4ab, v24
	v_dual_fmamk_f32 v59, v23, 0xbe8c1d8e, v44 :: v_dual_add_f32 v46, v46, v49
	s_delay_alu instid0(VALU_DEP_3) | instskip(SKIP_1) | instid1(VALU_DEP_4)
	v_add_f32_e32 v34, v34, v38
	v_fma_f32 v38, 0xbe8c1d8e, v23, -v44
	v_fmamk_f32 v44, v23, 0x3f6eb680, v43
	s_delay_alu instid0(VALU_DEP_4) | instskip(SKIP_4) | instid1(VALU_DEP_4)
	v_add_f32_e32 v49, v59, v57
	v_mul_f32_e32 v57, 0xbf06c442, v24
	v_fma_f32 v43, 0x3f6eb680, v23, -v43
	v_add_f32_e32 v38, v38, v51
	v_dual_add_f32 v44, v44, v45 :: v_dual_mul_f32 v45, 0x3f7ee86f, v24
	v_fmamk_f32 v51, v23, 0xbf59a7d5, v57
	s_delay_alu instid0(VALU_DEP_4) | instskip(SKIP_1) | instid1(VALU_DEP_4)
	v_add_f32_e32 v43, v43, v47
	v_fma_f32 v47, 0xbf59a7d5, v23, -v57
	v_fmamk_f32 v59, v23, 0x3dbcf732, v45
	v_fma_f32 v45, 0x3dbcf732, v23, -v45
	s_delay_alu instid0(VALU_DEP_3) | instskip(NEXT) | instid1(VALU_DEP_2)
	v_add_f32_e32 v47, v47, v54
	v_add_f32_e32 v45, v45, v56
	v_mul_f32_e32 v56, 0xbe3c28d5, v24
	s_delay_alu instid0(VALU_DEP_1) | instskip(SKIP_2) | instid1(VALU_DEP_3)
	v_fmamk_f32 v22, v23, 0xbf7ba420, v56
	v_mul_f32_e32 v57, 0xbf2c7751, v24
	v_mul_f32_e32 v24, 0x3f65296c, v24
	v_dual_add_f32 v22, v22, v39 :: v_dual_add_f32 v55, v55, v62
	v_add_f32_e32 v51, v51, v52
	s_delay_alu instid0(VALU_DEP_2) | instskip(SKIP_1) | instid1(VALU_DEP_1)
	v_dual_mul_f32 v39, 0x3f65296c, v20 :: v_dual_add_f32 v54, v59, v55
	v_fma_f32 v55, 0x3f3d2fb0, v23, -v57
	v_add_f32_e32 v48, v55, v48
	v_fma_f32 v55, 0xbf7ba420, v23, -v56
	v_fmamk_f32 v56, v23, 0x3ee437d1, v24
	v_fmamk_f32 v52, v23, 0x3f3d2fb0, v57
	v_fma_f32 v23, 0x3ee437d1, v23, -v24
	s_delay_alu instid0(VALU_DEP_2) | instskip(NEXT) | instid1(VALU_DEP_4)
	v_add_f32_e32 v52, v52, v58
	v_dual_add_f32 v24, v55, v35 :: v_dual_add_f32 v35, v56, v37
	v_mul_f32_e32 v21, 0xbf06c442, v20
	s_delay_alu instid0(VALU_DEP_4) | instskip(SKIP_1) | instid1(VALU_DEP_3)
	v_add_f32_e32 v23, v23, v36
	v_mul_f32_e32 v36, 0xbf7ee86f, v20
	v_fmamk_f32 v37, v19, 0xbf59a7d5, v21
	v_fma_f32 v21, 0xbf59a7d5, v19, -v21
	s_delay_alu instid0(VALU_DEP_2) | instskip(NEXT) | instid1(VALU_DEP_2)
	v_dual_add_f32 v37, v37, v46 :: v_dual_fmamk_f32 v46, v19, 0x3ee437d1, v39
	v_add_f32_e32 v21, v21, v34
	v_fma_f32 v39, 0x3ee437d1, v19, -v39
	v_fmamk_f32 v34, v19, 0x3dbcf732, v36
	v_fma_f32 v36, 0x3dbcf732, v19, -v36
	v_add_f32_e32 v46, v46, v49
	s_delay_alu instid0(VALU_DEP_4) | instskip(NEXT) | instid1(VALU_DEP_4)
	v_dual_add_f32 v38, v39, v38 :: v_dual_mul_f32 v55, 0x3f4c4adb, v20
	v_add_f32_e32 v34, v34, v44
	s_delay_alu instid0(VALU_DEP_4) | instskip(SKIP_1) | instid1(VALU_DEP_4)
	v_dual_mul_f32 v44, 0xbeb8f4ab, v20 :: v_dual_add_f32 v43, v36, v43
	v_mul_f32_e32 v36, 0xbe3c28d5, v20
	v_fmamk_f32 v39, v19, 0xbf1a4643, v55
	v_fma_f32 v49, 0xbf1a4643, v19, -v55
	v_mul_f32_e32 v55, 0x3f2c7751, v20
	s_delay_alu instid0(VALU_DEP_3) | instskip(SKIP_1) | instid1(VALU_DEP_4)
	v_dual_mul_f32 v20, 0xbf763a35, v20 :: v_dual_add_f32 v39, v39, v51
	v_fmamk_f32 v51, v19, 0x3f6eb680, v44
	v_add_f32_e32 v47, v49, v47
	v_fma_f32 v44, 0x3f6eb680, v19, -v44
	v_fmamk_f32 v49, v19, 0xbf7ba420, v36
	v_fma_f32 v36, 0xbf7ba420, v19, -v36
	v_fma_f32 v18, 0x3f3d2fb0, v19, -v55
	s_delay_alu instid0(VALU_DEP_4) | instskip(NEXT) | instid1(VALU_DEP_3)
	v_add_f32_e32 v44, v44, v45
	v_add_f32_e32 v48, v36, v48
	v_fmamk_f32 v36, v19, 0xbe8c1d8e, v20
	s_delay_alu instid0(VALU_DEP_4)
	v_add_f32_e32 v18, v18, v24
	v_dual_mul_f32 v24, 0x3eb8f4ab, v17 :: v_dual_add_f32 v45, v49, v52
	v_fmamk_f32 v49, v19, 0x3f3d2fb0, v55
	v_fma_f32 v19, 0xbe8c1d8e, v19, -v20
	v_dual_add_f32 v20, v36, v35 :: v_dual_fmamk_f32 v35, v15, 0xbf7ba420, v16
	v_fma_f32 v16, 0xbf7ba420, v15, -v16
	s_delay_alu instid0(VALU_DEP_3)
	v_dual_add_f32 v22, v49, v22 :: v_dual_add_f32 v19, v19, v23
	v_mul_f32_e32 v23, 0xbf06c442, v17
	v_fmamk_f32 v36, v15, 0x3f6eb680, v24
	v_add_f32_e32 v49, v35, v37
	v_add_f32_e32 v35, v16, v21
	v_fma_f32 v16, 0x3f6eb680, v15, -v24
	s_delay_alu instid0(VALU_DEP_4) | instskip(SKIP_2) | instid1(VALU_DEP_4)
	v_dual_fmamk_f32 v21, v15, 0xbf59a7d5, v23 :: v_dual_add_f32 v24, v36, v46
	v_mul_f32_e32 v46, 0x3f2c7751, v17
	v_fma_f32 v23, 0xbf59a7d5, v15, -v23
	v_add_f32_e32 v36, v16, v38
	s_delay_alu instid0(VALU_DEP_4) | instskip(NEXT) | instid1(VALU_DEP_4)
	v_add_f32_e32 v16, v21, v34
	v_fmamk_f32 v34, v15, 0x3f3d2fb0, v46
	s_delay_alu instid0(VALU_DEP_4) | instskip(SKIP_4) | instid1(VALU_DEP_4)
	v_add_f32_e32 v37, v23, v43
	v_fma_f32 v23, 0x3f3d2fb0, v15, -v46
	v_mul_f32_e32 v21, 0xbf4c4adb, v17
	v_mul_f32_e32 v43, 0x3f65296c, v17
	v_add_f32_e32 v39, v34, v39
	v_add_f32_e32 v38, v23, v47
	s_delay_alu instid0(VALU_DEP_4) | instskip(SKIP_3) | instid1(VALU_DEP_3)
	v_fmamk_f32 v46, v15, 0xbf1a4643, v21
	v_fma_f32 v21, 0xbf1a4643, v15, -v21
	v_fmamk_f32 v23, v15, 0x3ee437d1, v43
	v_mul_f32_e32 v47, 0xbf763a35, v17
	v_dual_mul_f32 v17, 0x3f7ee86f, v17 :: v_dual_add_f32 v34, v21, v44
	s_delay_alu instid0(VALU_DEP_3) | instskip(SKIP_1) | instid1(VALU_DEP_3)
	v_add_f32_e32 v21, v23, v45
	v_fma_f32 v23, 0x3ee437d1, v15, -v43
	v_fmamk_f32 v45, v15, 0x3dbcf732, v17
	v_add_f32_e32 v51, v51, v54
	v_fmamk_f32 v43, v15, 0xbe8c1d8e, v47
	v_fma_f32 v44, 0xbe8c1d8e, v15, -v47
	v_fma_f32 v15, 0x3dbcf732, v15, -v17
	v_add_f32_e32 v20, v45, v20
	v_add_f32_e32 v46, v46, v51
	;; [unrolled: 1-line block ×4, first 2 shown]
	v_dual_add_f32 v15, v15, v19 :: v_dual_add_f32 v18, v44, v18
	ds_store_2addr_b32 v61, v53, v49 offset1:17
	ds_store_2addr_b32 v61, v24, v16 offset0:34 offset1:51
	ds_store_2addr_b32 v61, v39, v46 offset0:68 offset1:85
	;; [unrolled: 1-line block ×7, first 2 shown]
	ds_store_b32 v61, v35 offset:1088
	v_add_nc_u32_e32 v15, 0x400, v50
	v_add_nc_u32_e32 v17, 0x800, v50
	;; [unrolled: 1-line block ×5, first 2 shown]
	global_wb scope:SCOPE_SE
	s_wait_dscnt 0x0
	s_barrier_signal -1
	s_barrier_wait -1
	global_inv scope:SCOPE_SE
	ds_load_2addr_b32 v[15:16], v15 offset0:33 offset1:135
	ds_load_2addr_b32 v[17:18], v17 offset0:66 offset1:168
	ds_load_2addr_b32 v[19:20], v19 offset0:99 offset1:201
	ds_load_2addr_b32 v[23:24], v21 offset0:132 offset1:234
	ds_load_2addr_b32 v[21:22], v22 offset0:37 offset1:139
	ds_load_b32 v43, v50
	ds_load_b32 v44, v26
                                        ; implicit-def: $vgpr39
	s_and_saveexec_b32 s1, s0
	s_cbranch_execz .LBB0_17
; %bb.16:
	ds_load_b32 v34, v25
	ds_load_b32 v38, v50 offset:1972
	ds_load_b32 v37, v50 offset:3128
	;; [unrolled: 1-line block ×5, first 2 shown]
.LBB0_17:
	s_wait_alu 0xfffe
	s_or_b32 exec_lo, exec_lo, s1
	s_and_saveexec_b32 s1, vcc_lo
	s_cbranch_execz .LBB0_20
; %bb.18:
	v_mul_i32_i24_e32 v25, 5, v42
	v_dual_mov_b32 v26, 0 :: v_dual_add_nc_u32 v67, 0x66, v40
	v_mul_u32_u24_e32 v45, 5, v40
	v_mul_lo_u32 v4, s2, v4
	v_mad_co_u64_u32 v[65:66], null, s2, v3, 0
	s_delay_alu instid0(VALU_DEP_4) | instskip(NEXT) | instid1(VALU_DEP_4)
	v_lshlrev_b64_e32 v[49:50], 3, v[25:26]
	v_lshlrev_b32_e32 v42, 3, v45
	v_mul_lo_u32 v25, s3, v3
	s_clause 0x1
	global_load_b128 v[45:48], v42, s[4:5] offset:2192
	global_load_b64 v[61:62], v42, s[4:5] offset:2208
	v_add_co_u32 v57, vcc_lo, s4, v49
	s_wait_alu 0xfffd
	v_add_co_ci_u32_e32 v58, vcc_lo, s5, v50, vcc_lo
	s_clause 0x3
	global_load_b128 v[49:52], v[57:58], off offset:2176
	global_load_b128 v[53:56], v[57:58], off offset:2192
	global_load_b64 v[63:64], v[57:58], off offset:2208
	global_load_b128 v[57:60], v42, s[4:5] offset:2176
	v_mul_hi_u32 v42, 0xe2c4a689, v40
	v_mul_hi_u32 v68, 0xe2c4a689, v67
	v_add3_u32 v66, v66, v4, v25
	v_lshlrev_b64_e32 v[1:2], 3, v[1:2]
	s_delay_alu instid0(VALU_DEP_2) | instskip(SKIP_2) | instid1(VALU_DEP_2)
	v_lshlrev_b64_e32 v[65:66], 3, v[65:66]
	v_lshrrev_b32_e32 v42, 8, v42
	v_lshrrev_b32_e32 v25, 8, v68
	v_mul_u32_u24_e32 v4, 0x121, v42
	s_delay_alu instid0(VALU_DEP_4) | instskip(SKIP_2) | instid1(VALU_DEP_3)
	v_add_co_u32 v68, s1, s10, v65
	s_wait_alu 0xf1fe
	v_add_co_ci_u32_e64 v69, s1, s11, v66, s1
	v_sub_nc_u32_e32 v42, v40, v4
	v_mul_u32_u24_e32 v4, 0x121, v25
	v_add_co_u32 v1, s1, v68, v1
	s_wait_alu 0xf1ff
	v_add_co_ci_u32_e64 v2, s1, v69, v2, s1
	s_delay_alu instid0(VALU_DEP_3) | instskip(SKIP_3) | instid1(VALU_DEP_4)
	v_sub_nc_u32_e32 v4, v67, v4
	v_add_nc_u32_e32 v87, 0x242, v42
	v_mad_co_u64_u32 v[65:66], null, s16, v42, 0
	v_add_nc_u32_e32 v89, 0x363, v42
	v_mad_u32_u24 v95, 0x6c6, v25, v4
	s_delay_alu instid0(VALU_DEP_4) | instskip(SKIP_1) | instid1(VALU_DEP_4)
	v_mad_co_u64_u32 v[69:70], null, s16, v87, 0
	v_add_nc_u32_e32 v91, 0x484, v42
	v_mad_co_u64_u32 v[71:72], null, s16, v89, 0
	s_delay_alu instid0(VALU_DEP_4) | instskip(SKIP_4) | instid1(VALU_DEP_4)
	v_mad_co_u64_u32 v[77:78], null, s16, v95, 0
	v_add_nc_u32_e32 v97, 0x242, v95
	v_mov_b32_e32 v25, v70
	v_dual_mov_b32 v4, v66 :: v_dual_add_nc_u32 v3, 0xcc, v40
	v_mad_co_u64_u32 v[73:74], null, s16, v91, 0
	v_mad_co_u64_u32 v[82:83], null, s16, v97, 0
	v_add_nc_u32_e32 v84, 0x121, v42
	v_mad_co_u64_u32 v[87:88], null, s17, v87, v[25:26]
	v_mad_co_u64_u32 v[79:80], null, s17, v42, v[4:5]
	v_add_nc_u32_e32 v93, 0x5a5, v42
	v_mov_b32_e32 v25, v83
	v_mad_co_u64_u32 v[67:68], null, s16, v84, 0
	v_dual_mov_b32 v42, v72 :: v_dual_add_nc_u32 v99, 0x484, v95
	v_mov_b32_e32 v66, v74
	v_mad_co_u64_u32 v[75:76], null, s16, v93, 0
	s_wait_dscnt 0x1
	s_delay_alu instid0(VALU_DEP_3) | instskip(SKIP_4) | instid1(VALU_DEP_4)
	v_mad_co_u64_u32 v[88:89], null, s17, v89, v[42:43]
	v_mov_b32_e32 v4, v68
	v_mad_co_u64_u32 v[91:92], null, s17, v91, v[66:67]
	v_mov_b32_e32 v66, v79
	v_mad_co_u64_u32 v[89:90], null, s16, v99, 0
	v_mad_co_u64_u32 v[84:85], null, s17, v84, v[4:5]
	v_mov_b32_e32 v4, v78
	v_add_nc_u32_e32 v96, 0x121, v95
	v_mov_b32_e32 v68, v76
	v_mov_b32_e32 v70, v87
	;; [unrolled: 1-line block ×3, first 2 shown]
	v_mad_co_u64_u32 v[78:79], null, s17, v95, v[4:5]
	v_mov_b32_e32 v79, v90
	v_mad_co_u64_u32 v[80:81], null, s16, v96, 0
	v_mad_co_u64_u32 v[92:93], null, s17, v93, v[68:69]
	v_mov_b32_e32 v68, v84
	v_mov_b32_e32 v74, v91
	v_lshlrev_b64_e32 v[65:66], 3, v[65:66]
	v_lshlrev_b64_e32 v[77:78], 3, v[77:78]
	v_mov_b32_e32 v4, v81
	v_mad_co_u64_u32 v[90:91], null, s17, v99, v[79:80]
	v_mov_b32_e32 v76, v92
	v_add_co_u32 v65, s1, v1, v65
	s_delay_alu instid0(VALU_DEP_4) | instskip(SKIP_4) | instid1(VALU_DEP_3)
	v_mad_co_u64_u32 v[83:84], null, s17, v96, v[4:5]
	v_add_nc_u32_e32 v100, 0x5a5, v95
	s_wait_alu 0xf1ff
	v_add_co_ci_u32_e64 v66, s1, v2, v66, s1
	v_cmp_gt_u32_e32 vcc_lo, 0x121, v3
	v_mad_co_u64_u32 v[93:94], null, s16, v100, 0
	s_delay_alu instid0(VALU_DEP_1) | instskip(NEXT) | instid1(VALU_DEP_1)
	v_dual_mov_b32 v81, v94 :: v_dual_add_nc_u32 v98, 0x363, v95
	v_mad_co_u64_u32 v[85:86], null, s16, v98, 0
	s_delay_alu instid0(VALU_DEP_2) | instskip(NEXT) | instid1(VALU_DEP_2)
	v_mad_co_u64_u32 v[91:92], null, s17, v100, v[81:82]
	v_dual_mov_b32 v81, v83 :: v_dual_mov_b32 v42, v86
	v_mad_co_u64_u32 v[86:87], null, s17, v97, v[25:26]
	s_delay_alu instid0(VALU_DEP_2) | instskip(NEXT) | instid1(VALU_DEP_4)
	v_lshlrev_b64_e32 v[79:80], 3, v[80:81]
	v_mov_b32_e32 v94, v91
	s_delay_alu instid0(VALU_DEP_4) | instskip(NEXT) | instid1(VALU_DEP_4)
	v_mad_co_u64_u32 v[87:88], null, s17, v98, v[42:43]
	v_mov_b32_e32 v83, v86
	v_lshlrev_b64_e32 v[67:68], 3, v[67:68]
	s_delay_alu instid0(VALU_DEP_3) | instskip(NEXT) | instid1(VALU_DEP_3)
	v_mov_b32_e32 v86, v87
	v_lshlrev_b64_e32 v[81:82], 3, v[82:83]
	s_delay_alu instid0(VALU_DEP_3) | instskip(SKIP_1) | instid1(VALU_DEP_4)
	v_add_co_u32 v67, s1, v1, v67
	s_wait_alu 0xf1ff
	v_add_co_ci_u32_e64 v68, s1, v2, v68, s1
	s_wait_loadcnt 0x5
	v_dual_mul_f32 v25, v13, v48 :: v_dual_mul_f32 v42, v19, v46
	v_mul_f32_e32 v46, v9, v46
	v_lshlrev_b64_e32 v[69:70], 3, v[69:70]
	s_delay_alu instid0(VALU_DEP_3) | instskip(NEXT) | instid1(VALU_DEP_4)
	v_fmac_f32_e32 v25, v23, v47
	v_fma_f32 v9, v9, v45, -v42
	v_mul_f32_e32 v4, v23, v48
	s_wait_loadcnt 0x2
	v_dual_mul_f32 v23, v14, v56 :: v_dual_mul_f32 v48, v21, v62
	v_add_co_u32 v69, s1, v1, v69
	s_wait_alu 0xf1ff
	v_add_co_ci_u32_e64 v70, s1, v2, v70, s1
	s_delay_alu instid0(VALU_DEP_3) | instskip(SKIP_1) | instid1(VALU_DEP_2)
	v_dual_fmac_f32 v23, v24, v55 :: v_dual_mul_f32 v62, v11, v62
	v_lshlrev_b64_e32 v[75:76], 3, v[75:76]
	v_dual_fmac_f32 v62, v21, v61 :: v_dual_mul_f32 v21, v8, v52
	v_lshlrev_b64_e32 v[73:74], 3, v[73:74]
	s_delay_alu instid0(VALU_DEP_2) | instskip(SKIP_2) | instid1(VALU_DEP_2)
	v_fmac_f32_e32 v21, v18, v51
	v_fma_f32 v11, v11, v61, -v48
	v_mul_f32_e32 v48, v10, v54
	v_dual_mul_f32 v42, v16, v50 :: v_dual_add_f32 v61, v9, v11
	v_fma_f32 v4, v13, v47, -v4
	v_mul_f32_e32 v13, v18, v52
	s_wait_loadcnt 0x1
	v_mul_f32_e32 v52, v12, v64
	v_dual_fmac_f32 v48, v20, v53 :: v_dual_mul_f32 v47, v22, v64
	v_lshlrev_b64_e32 v[71:72], 3, v[71:72]
	v_fma_f32 v8, v8, v51, -v13
	s_delay_alu instid0(VALU_DEP_4)
	v_fmac_f32_e32 v52, v22, v63
	v_dual_fmac_f32 v46, v19, v45 :: v_dual_mul_f32 v19, v24, v56
	s_wait_loadcnt 0x0
	v_dual_mul_f32 v56, v7, v60 :: v_dual_mul_f32 v45, v20, v54
	v_fma_f32 v12, v12, v63, -v47
	s_wait_dscnt 0x0
	v_add_f32_e32 v20, v44, v21
	v_fma_f32 v13, v14, v55, -v19
	v_fmac_f32_e32 v56, v17, v59
	v_mul_f32_e32 v50, v6, v50
	v_mul_f32_e32 v54, v17, v60
	v_fma_f32 v10, v10, v53, -v45
	v_lshlrev_b64_e32 v[83:84], 3, v[85:86]
	v_sub_f32_e32 v53, v56, v25
	v_fmac_f32_e32 v50, v16, v49
	v_fma_f32 v7, v7, v59, -v54
	v_add_f32_e32 v16, v10, v12
	v_sub_f32_e32 v18, v10, v12
	v_lshlrev_b64_e32 v[85:86], 3, v[89:90]
	v_add_f32_e32 v22, v50, v48
	v_mul_f32_e32 v60, v15, v58
	v_dual_mul_f32 v58, v5, v58 :: v_dual_add_f32 v51, v7, v4
	v_add_f32_e32 v24, v8, v13
	v_add_f32_e32 v45, v56, v25
	s_delay_alu instid0(VALU_DEP_4) | instskip(NEXT) | instid1(VALU_DEP_4)
	v_fma_f32 v5, v5, v57, -v60
	v_dual_fmac_f32 v58, v15, v57 :: v_dual_add_f32 v15, v21, v23
	v_sub_f32_e32 v21, v21, v23
	v_fma_f32 v6, v6, v49, -v42
	v_add_f32_e32 v49, v43, v56
	v_fma_f32 v47, -0.5, v61, v5
	v_fma_f32 v44, -0.5, v15, v44
	s_delay_alu instid0(VALU_DEP_4)
	v_dual_sub_f32 v89, v9, v11 :: v_dual_add_f32 v10, v6, v10
	v_fma_f32 v15, -0.5, v16, v6
	v_add_f32_e32 v6, v20, v23
	v_dual_sub_f32 v42, v7, v4 :: v_dual_add_f32 v7, v32, v7
	v_add_f32_e32 v20, v49, v25
	v_fma_f32 v24, -0.5, v24, v33
	v_fma_f32 v23, -0.5, v51, v32
	v_add_f32_e32 v5, v5, v9
	v_add_f32_e32 v25, v7, v4
	v_sub_f32_e32 v17, v48, v52
	v_dual_add_f32 v19, v48, v52 :: v_dual_add_f32 v90, v46, v62
	v_add_co_u32 v71, s1, v1, v71
	s_wait_alu 0xf1ff
	v_add_co_ci_u32_e64 v72, s1, v2, v72, s1
	s_delay_alu instid0(VALU_DEP_3)
	v_fma_f32 v48, -0.5, v90, v58
	v_sub_f32_e32 v64, v46, v62
	v_add_f32_e32 v46, v58, v46
	v_fma_f32 v16, -0.5, v19, v50
	v_fma_f32 v19, -0.5, v45, v43
	v_fmamk_f32 v43, v17, 0xbf5db3d7, v15
	v_add_f32_e32 v9, v22, v52
	v_add_f32_e32 v22, v46, v62
	v_fmamk_f32 v46, v21, 0xbf5db3d7, v24
	v_fmac_f32_e32 v24, 0x3f5db3d7, v21
	v_dual_fmamk_f32 v21, v53, 0xbf5db3d7, v23 :: v_dual_sub_f32 v14, v8, v13
	v_dual_fmamk_f32 v45, v18, 0x3f5db3d7, v16 :: v_dual_add_f32 v8, v33, v8
	v_add_f32_e32 v7, v6, v9
	v_add_f32_e32 v10, v10, v12
	s_delay_alu instid0(VALU_DEP_4)
	v_fmamk_f32 v33, v14, 0x3f5db3d7, v44
	v_fmac_f32_e32 v44, 0xbf5db3d7, v14
	v_fmamk_f32 v14, v42, 0x3f5db3d7, v19
	v_dual_add_f32 v32, v5, v11 :: v_dual_sub_f32 v5, v6, v9
	v_dual_add_f32 v8, v8, v13 :: v_dual_fmamk_f32 v13, v89, 0x3f5db3d7, v48
	v_dual_fmac_f32 v19, 0xbf5db3d7, v42 :: v_dual_fmac_f32 v48, 0xbf5db3d7, v89
	v_fmamk_f32 v12, v64, 0xbf5db3d7, v47
	v_fmac_f32_e32 v47, 0x3f5db3d7, v64
	v_fmac_f32_e32 v15, 0x3f5db3d7, v17
	v_mul_f32_e32 v17, -0.5, v13
	v_mul_f32_e32 v49, 0x3f5db3d7, v48
	v_add_f32_e32 v11, v20, v22
	v_add_co_u32 v73, s1, v1, v73
	s_delay_alu instid0(VALU_DEP_4) | instskip(NEXT) | instid1(VALU_DEP_4)
	v_fmac_f32_e32 v17, 0xbf5db3d7, v12
	v_dual_fmac_f32 v49, 0.5, v47 :: v_dual_sub_f32 v4, v8, v10
	v_add_f32_e32 v6, v8, v10
	v_add_f32_e32 v10, v25, v32
	s_wait_alu 0xf1ff
	v_add_co_ci_u32_e64 v74, s1, v2, v74, s1
	v_add_co_u32 v75, s1, v1, v75
	v_fmac_f32_e32 v16, 0xbf5db3d7, v18
	v_mul_f32_e32 v18, 0xbf5db3d7, v47
	v_dual_sub_f32 v8, v25, v32 :: v_dual_mul_f32 v25, 0xbf5db3d7, v15
	global_store_b64 v[65:66], v[10:11], off
	v_dual_sub_f32 v11, v14, v17 :: v_dual_mul_f32 v42, -0.5, v12
	s_wait_alu 0xf1ff
	v_add_co_ci_u32_e64 v76, s1, v2, v76, s1
	v_add_co_u32 v77, s1, v1, v77
	s_wait_alu 0xf1ff
	v_add_co_ci_u32_e64 v78, s1, v2, v78, s1
	v_mul_f32_e32 v50, 0x3f5db3d7, v16
	v_fmac_f32_e32 v18, 0.5, v48
	v_dual_fmac_f32 v42, 0x3f5db3d7, v13 :: v_dual_fmac_f32 v25, 0.5, v16
	v_add_co_u32 v79, s1, v1, v79
	s_wait_alu 0xf1ff
	v_add_co_ci_u32_e64 v80, s1, v2, v80, s1
	v_add_co_u32 v81, s1, v1, v81
	v_dual_fmac_f32 v23, 0x3f5db3d7, v53 :: v_dual_mul_f32 v32, -0.5, v43
	v_fmac_f32_e32 v50, 0.5, v15
	v_dual_sub_f32 v10, v21, v42 :: v_dual_add_f32 v15, v14, v17
	v_add_f32_e32 v17, v19, v18
	v_dual_add_f32 v14, v21, v42 :: v_dual_sub_f32 v21, v44, v25
	v_add_f32_e32 v25, v44, v25
	v_dual_sub_f32 v9, v20, v22 :: v_dual_mul_f32 v22, -0.5, v45
	s_wait_alu 0xf1ff
	v_add_co_ci_u32_e64 v82, s1, v2, v82, s1
	v_lshlrev_b64_e32 v[87:88], 3, v[93:94]
	v_add_co_u32 v83, s1, v1, v83
	s_wait_alu 0xf1ff
	v_add_co_ci_u32_e64 v84, s1, v2, v84, s1
	v_add_co_u32 v85, s1, v1, v85
	v_fmac_f32_e32 v22, 0xbf5db3d7, v43
	v_fmac_f32_e32 v32, 0x3f5db3d7, v45
	v_add_f32_e32 v16, v23, v49
	s_wait_alu 0xf1ff
	v_add_co_ci_u32_e64 v86, s1, v2, v86, s1
	v_add_co_u32 v87, s1, v1, v87
	v_sub_f32_e32 v13, v19, v18
	v_sub_f32_e32 v12, v23, v49
	s_wait_alu 0xf1ff
	v_add_co_ci_u32_e64 v88, s1, v2, v88, s1
	v_dual_sub_f32 v19, v33, v22 :: v_dual_sub_f32 v18, v46, v32
	v_sub_f32_e32 v20, v24, v50
	v_dual_add_f32 v23, v33, v22 :: v_dual_add_f32 v22, v46, v32
	v_add_f32_e32 v24, v24, v50
	s_clause 0xa
	global_store_b64 v[67:68], v[16:17], off
	global_store_b64 v[69:70], v[14:15], off
	;; [unrolled: 1-line block ×11, first 2 shown]
	s_and_b32 exec_lo, exec_lo, vcc_lo
	s_cbranch_execz .LBB0_20
; %bb.19:
	v_add_nc_u32_e32 v4, 0xffffffab, v40
	v_mad_co_u64_u32 v[14:15], null, s16, v3, 0
	v_add_nc_u32_e32 v42, 0x42f, v40
	v_add_nc_u32_e32 v44, 0x671, v40
	s_delay_alu instid0(VALU_DEP_4) | instskip(NEXT) | instid1(VALU_DEP_3)
	v_cndmask_b32_e64 v4, v4, v41, s0
	v_mad_co_u64_u32 v[20:21], null, s16, v42, 0
	s_delay_alu instid0(VALU_DEP_2) | instskip(NEXT) | instid1(VALU_DEP_1)
	v_mul_i32_i24_e32 v25, 5, v4
	v_lshlrev_b64_e32 v[4:5], 3, v[25:26]
	v_mad_co_u64_u32 v[24:25], null, s16, v44, 0
	s_delay_alu instid0(VALU_DEP_2) | instskip(SKIP_1) | instid1(VALU_DEP_3)
	v_add_co_u32 v12, vcc_lo, s4, v4
	s_wait_alu 0xfffd
	v_add_co_ci_u32_e32 v13, vcc_lo, s5, v5, vcc_lo
	s_clause 0x2
	global_load_b128 v[4:7], v[12:13], off offset:2176
	global_load_b128 v[8:11], v[12:13], off offset:2192
	global_load_b64 v[12:13], v[12:13], off offset:2208
	v_add_nc_u32_e32 v41, 0x30e, v40
	v_add_nc_u32_e32 v43, 0x550, v40
	s_delay_alu instid0(VALU_DEP_2) | instskip(SKIP_1) | instid1(VALU_DEP_1)
	v_mad_co_u64_u32 v[18:19], null, s16, v41, 0
	v_add_nc_u32_e32 v26, 0x1ed, v40
	v_mad_co_u64_u32 v[16:17], null, s16, v26, 0
	s_delay_alu instid0(VALU_DEP_1) | instskip(NEXT) | instid1(VALU_DEP_4)
	v_mad_co_u64_u32 v[32:33], null, s17, v3, v[15:16]
	v_mov_b32_e32 v15, v19
	s_delay_alu instid0(VALU_DEP_3) | instskip(SKIP_2) | instid1(VALU_DEP_4)
	v_mov_b32_e32 v3, v17
	v_mov_b32_e32 v17, v21
	;; [unrolled: 1-line block ×3, first 2 shown]
	v_mad_co_u64_u32 v[40:41], null, s17, v41, v[15:16]
	v_mov_b32_e32 v15, v32
	s_delay_alu instid0(VALU_DEP_4) | instskip(NEXT) | instid1(VALU_DEP_2)
	v_mad_co_u64_u32 v[41:42], null, s17, v42, v[17:18]
	v_lshlrev_b64_e32 v[14:15], 3, v[14:15]
	s_delay_alu instid0(VALU_DEP_1) | instskip(SKIP_1) | instid1(VALU_DEP_2)
	v_add_co_u32 v14, vcc_lo, v1, v14
	s_wait_alu 0xfffd
	v_add_co_ci_u32_e32 v15, vcc_lo, v2, v15, vcc_lo
	s_wait_loadcnt 0x2
	v_mad_co_u64_u32 v[25:26], null, s17, v26, v[3:4]
	s_wait_loadcnt 0x1
	v_mul_f32_e32 v26, v35, v11
	v_mad_co_u64_u32 v[22:23], null, s16, v43, 0
	v_mul_f32_e32 v11, v27, v11
	v_mul_f32_e32 v3, v38, v5
	v_mov_b32_e32 v17, v25
	s_delay_alu instid0(VALU_DEP_3) | instskip(SKIP_2) | instid1(VALU_DEP_4)
	v_fmac_f32_e32 v11, v35, v10
	v_mov_b32_e32 v19, v23
	v_mad_co_u64_u32 v[32:33], null, s17, v44, v[21:22]
	v_lshlrev_b64_e32 v[16:17], 3, v[16:17]
	v_mov_b32_e32 v21, v41
	s_delay_alu instid0(VALU_DEP_4) | instskip(SKIP_4) | instid1(VALU_DEP_3)
	v_mad_co_u64_u32 v[42:43], null, s17, v43, v[19:20]
	v_mov_b32_e32 v19, v40
	s_wait_loadcnt 0x0
	v_dual_mov_b32 v25, v32 :: v_dual_mul_f32 v32, v39, v13
	v_mul_f32_e32 v13, v31, v13
	v_lshlrev_b64_e32 v[18:19], 3, v[18:19]
	v_lshlrev_b64_e32 v[20:21], 3, v[20:21]
	v_add_co_u32 v16, vcc_lo, v1, v16
	s_delay_alu instid0(VALU_DEP_4) | instskip(SKIP_4) | instid1(VALU_DEP_3)
	v_fmac_f32_e32 v13, v39, v12
	v_mov_b32_e32 v23, v42
	s_wait_alu 0xfffd
	v_add_co_ci_u32_e32 v17, vcc_lo, v2, v17, vcc_lo
	v_add_co_u32 v18, vcc_lo, v1, v18
	v_lshlrev_b64_e32 v[22:23], 3, v[22:23]
	s_wait_alu 0xfffd
	v_add_co_ci_u32_e32 v19, vcc_lo, v2, v19, vcc_lo
	v_lshlrev_b64_e32 v[24:25], 3, v[24:25]
	v_add_co_u32 v20, vcc_lo, v1, v20
	s_wait_alu 0xfffd
	v_add_co_ci_u32_e32 v21, vcc_lo, v2, v21, vcc_lo
	v_add_co_u32 v22, vcc_lo, v1, v22
	s_wait_alu 0xfffd
	v_add_co_ci_u32_e32 v23, vcc_lo, v2, v23, vcc_lo
	;; [unrolled: 3-line block ×3, first 2 shown]
	v_mul_f32_e32 v24, v30, v5
	v_mul_f32_e32 v25, v36, v9
	;; [unrolled: 1-line block ×3, first 2 shown]
	v_fma_f32 v30, v30, v4, -v3
	s_delay_alu instid0(VALU_DEP_4) | instskip(NEXT) | instid1(VALU_DEP_4)
	v_fmac_f32_e32 v24, v38, v4
	v_fma_f32 v4, v28, v8, -v25
	s_delay_alu instid0(VALU_DEP_4) | instskip(SKIP_1) | instid1(VALU_DEP_3)
	v_fma_f32 v3, v29, v6, -v5
	v_fma_f32 v5, v27, v10, -v26
	v_dual_add_f32 v26, v30, v4 :: v_dual_mul_f32 v7, v29, v7
	s_delay_alu instid0(VALU_DEP_1) | instskip(SKIP_1) | instid1(VALU_DEP_1)
	v_dual_add_f32 v10, v3, v5 :: v_dual_fmac_f32 v7, v37, v6
	v_fma_f32 v6, v31, v12, -v32
	v_dual_sub_f32 v12, v7, v11 :: v_dual_add_f32 v27, v4, v6
	v_sub_f32_e32 v4, v4, v6
	v_add_f32_e32 v6, v26, v6
	s_delay_alu instid0(VALU_DEP_3) | instskip(SKIP_2) | instid1(VALU_DEP_1)
	v_fmac_f32_e32 v30, -0.5, v27
	v_add_f32_e32 v25, v34, v7
	v_mul_f32_e32 v9, v28, v9
	v_fmac_f32_e32 v9, v36, v8
	v_add_f32_e32 v8, v0, v3
	v_fmac_f32_e32 v0, -0.5, v10
	s_delay_alu instid0(VALU_DEP_3) | instskip(SKIP_2) | instid1(VALU_DEP_1)
	v_sub_f32_e32 v28, v9, v13
	v_add_f32_e32 v29, v24, v9
	v_add_f32_e32 v9, v9, v13
	v_fmac_f32_e32 v24, -0.5, v9
	v_fmamk_f32 v9, v12, 0x3f5db3d7, v0
	v_dual_fmac_f32 v0, 0xbf5db3d7, v12 :: v_dual_add_f32 v7, v7, v11
	s_delay_alu instid0(VALU_DEP_3) | instskip(SKIP_1) | instid1(VALU_DEP_3)
	v_fmamk_f32 v12, v4, 0xbf5db3d7, v24
	v_fmac_f32_e32 v24, 0x3f5db3d7, v4
	v_dual_fmac_f32 v34, -0.5, v7 :: v_dual_add_f32 v7, v29, v13
	v_sub_f32_e32 v3, v3, v5
	s_delay_alu instid0(VALU_DEP_3) | instskip(SKIP_1) | instid1(VALU_DEP_3)
	v_mul_f32_e32 v27, -0.5, v24
	v_mul_f32_e32 v13, 0x3f5db3d7, v12
	v_dual_fmamk_f32 v10, v3, 0xbf5db3d7, v34 :: v_dual_add_f32 v5, v8, v5
	v_fmac_f32_e32 v34, 0x3f5db3d7, v3
	v_dual_add_f32 v8, v25, v11 :: v_dual_fmamk_f32 v11, v28, 0x3f5db3d7, v30
	s_delay_alu instid0(VALU_DEP_3) | instskip(NEXT) | instid1(VALU_DEP_2)
	v_dual_fmac_f32 v30, 0xbf5db3d7, v28 :: v_dual_add_f32 v3, v5, v6
	v_add_f32_e32 v4, v8, v7
	s_delay_alu instid0(VALU_DEP_2)
	v_dual_mul_f32 v26, 0xbf5db3d7, v11 :: v_dual_fmac_f32 v27, 0xbf5db3d7, v30
	v_mul_f32_e32 v25, -0.5, v30
	global_store_b64 v[14:15], v[3:4], off
	v_fmac_f32_e32 v26, 0.5, v12
	v_sub_f32_e32 v12, v34, v27
	v_fmac_f32_e32 v13, 0.5, v11
	s_delay_alu instid0(VALU_DEP_3) | instskip(NEXT) | instid1(VALU_DEP_2)
	v_dual_fmac_f32 v25, 0x3f5db3d7, v24 :: v_dual_add_f32 v4, v10, v26
	v_dual_sub_f32 v10, v10, v26 :: v_dual_add_f32 v3, v9, v13
	v_dual_sub_f32 v5, v5, v6 :: v_dual_sub_f32 v6, v8, v7
	s_delay_alu instid0(VALU_DEP_3)
	v_dual_add_f32 v7, v0, v25 :: v_dual_add_f32 v8, v34, v27
	v_sub_f32_e32 v9, v9, v13
	v_sub_f32_e32 v11, v0, v25
	s_clause 0x4
	global_store_b64 v[16:17], v[3:4], off
	global_store_b64 v[18:19], v[7:8], off
	;; [unrolled: 1-line block ×5, first 2 shown]
.LBB0_20:
	s_nop 0
	s_sendmsg sendmsg(MSG_DEALLOC_VGPRS)
	s_endpgm
	.section	.rodata,"a",@progbits
	.p2align	6, 0x0
	.amdhsa_kernel fft_rtc_fwd_len1734_factors_17_17_6_wgs_102_tpt_102_halfLds_sp_op_CI_CI_sbrr_dirReg
		.amdhsa_group_segment_fixed_size 0
		.amdhsa_private_segment_fixed_size 0
		.amdhsa_kernarg_size 104
		.amdhsa_user_sgpr_count 2
		.amdhsa_user_sgpr_dispatch_ptr 0
		.amdhsa_user_sgpr_queue_ptr 0
		.amdhsa_user_sgpr_kernarg_segment_ptr 1
		.amdhsa_user_sgpr_dispatch_id 0
		.amdhsa_user_sgpr_private_segment_size 0
		.amdhsa_wavefront_size32 1
		.amdhsa_uses_dynamic_stack 0
		.amdhsa_enable_private_segment 0
		.amdhsa_system_sgpr_workgroup_id_x 1
		.amdhsa_system_sgpr_workgroup_id_y 0
		.amdhsa_system_sgpr_workgroup_id_z 0
		.amdhsa_system_sgpr_workgroup_info 0
		.amdhsa_system_vgpr_workitem_id 0
		.amdhsa_next_free_vgpr 101
		.amdhsa_next_free_sgpr 43
		.amdhsa_reserve_vcc 1
		.amdhsa_float_round_mode_32 0
		.amdhsa_float_round_mode_16_64 0
		.amdhsa_float_denorm_mode_32 3
		.amdhsa_float_denorm_mode_16_64 3
		.amdhsa_fp16_overflow 0
		.amdhsa_workgroup_processor_mode 1
		.amdhsa_memory_ordered 1
		.amdhsa_forward_progress 0
		.amdhsa_round_robin_scheduling 0
		.amdhsa_exception_fp_ieee_invalid_op 0
		.amdhsa_exception_fp_denorm_src 0
		.amdhsa_exception_fp_ieee_div_zero 0
		.amdhsa_exception_fp_ieee_overflow 0
		.amdhsa_exception_fp_ieee_underflow 0
		.amdhsa_exception_fp_ieee_inexact 0
		.amdhsa_exception_int_div_zero 0
	.end_amdhsa_kernel
	.text
.Lfunc_end0:
	.size	fft_rtc_fwd_len1734_factors_17_17_6_wgs_102_tpt_102_halfLds_sp_op_CI_CI_sbrr_dirReg, .Lfunc_end0-fft_rtc_fwd_len1734_factors_17_17_6_wgs_102_tpt_102_halfLds_sp_op_CI_CI_sbrr_dirReg
                                        ; -- End function
	.section	.AMDGPU.csdata,"",@progbits
; Kernel info:
; codeLenInByte = 17620
; NumSgprs: 45
; NumVgprs: 101
; ScratchSize: 0
; MemoryBound: 0
; FloatMode: 240
; IeeeMode: 1
; LDSByteSize: 0 bytes/workgroup (compile time only)
; SGPRBlocks: 5
; VGPRBlocks: 12
; NumSGPRsForWavesPerEU: 45
; NumVGPRsForWavesPerEU: 101
; Occupancy: 12
; WaveLimiterHint : 1
; COMPUTE_PGM_RSRC2:SCRATCH_EN: 0
; COMPUTE_PGM_RSRC2:USER_SGPR: 2
; COMPUTE_PGM_RSRC2:TRAP_HANDLER: 0
; COMPUTE_PGM_RSRC2:TGID_X_EN: 1
; COMPUTE_PGM_RSRC2:TGID_Y_EN: 0
; COMPUTE_PGM_RSRC2:TGID_Z_EN: 0
; COMPUTE_PGM_RSRC2:TIDIG_COMP_CNT: 0
	.text
	.p2alignl 7, 3214868480
	.fill 96, 4, 3214868480
	.type	__hip_cuid_facfa5793d8a0c65,@object ; @__hip_cuid_facfa5793d8a0c65
	.section	.bss,"aw",@nobits
	.globl	__hip_cuid_facfa5793d8a0c65
__hip_cuid_facfa5793d8a0c65:
	.byte	0                               ; 0x0
	.size	__hip_cuid_facfa5793d8a0c65, 1

	.ident	"AMD clang version 19.0.0git (https://github.com/RadeonOpenCompute/llvm-project roc-6.4.0 25133 c7fe45cf4b819c5991fe208aaa96edf142730f1d)"
	.section	".note.GNU-stack","",@progbits
	.addrsig
	.addrsig_sym __hip_cuid_facfa5793d8a0c65
	.amdgpu_metadata
---
amdhsa.kernels:
  - .args:
      - .actual_access:  read_only
        .address_space:  global
        .offset:         0
        .size:           8
        .value_kind:     global_buffer
      - .offset:         8
        .size:           8
        .value_kind:     by_value
      - .actual_access:  read_only
        .address_space:  global
        .offset:         16
        .size:           8
        .value_kind:     global_buffer
      - .actual_access:  read_only
        .address_space:  global
        .offset:         24
        .size:           8
        .value_kind:     global_buffer
      - .actual_access:  read_only
        .address_space:  global
        .offset:         32
        .size:           8
        .value_kind:     global_buffer
      - .offset:         40
        .size:           8
        .value_kind:     by_value
      - .actual_access:  read_only
        .address_space:  global
        .offset:         48
        .size:           8
        .value_kind:     global_buffer
      - .actual_access:  read_only
        .address_space:  global
        .offset:         56
        .size:           8
        .value_kind:     global_buffer
      - .offset:         64
        .size:           4
        .value_kind:     by_value
      - .actual_access:  read_only
        .address_space:  global
        .offset:         72
        .size:           8
        .value_kind:     global_buffer
      - .actual_access:  read_only
        .address_space:  global
        .offset:         80
        .size:           8
        .value_kind:     global_buffer
      - .actual_access:  read_only
        .address_space:  global
        .offset:         88
        .size:           8
        .value_kind:     global_buffer
      - .actual_access:  write_only
        .address_space:  global
        .offset:         96
        .size:           8
        .value_kind:     global_buffer
    .group_segment_fixed_size: 0
    .kernarg_segment_align: 8
    .kernarg_segment_size: 104
    .language:       OpenCL C
    .language_version:
      - 2
      - 0
    .max_flat_workgroup_size: 102
    .name:           fft_rtc_fwd_len1734_factors_17_17_6_wgs_102_tpt_102_halfLds_sp_op_CI_CI_sbrr_dirReg
    .private_segment_fixed_size: 0
    .sgpr_count:     45
    .sgpr_spill_count: 0
    .symbol:         fft_rtc_fwd_len1734_factors_17_17_6_wgs_102_tpt_102_halfLds_sp_op_CI_CI_sbrr_dirReg.kd
    .uniform_work_group_size: 1
    .uses_dynamic_stack: false
    .vgpr_count:     101
    .vgpr_spill_count: 0
    .wavefront_size: 32
    .workgroup_processor_mode: 1
amdhsa.target:   amdgcn-amd-amdhsa--gfx1201
amdhsa.version:
  - 1
  - 2
...

	.end_amdgpu_metadata
